;; amdgpu-corpus repo=ROCm/rccl kind=compiled arch=gfx1100 opt=O3
	.text
	.amdgcn_target "amdgcn-amd-amdhsa--gfx1100"
	.amdhsa_code_object_version 6
	.p2align	2                               ; -- Begin function _ZN12_GLOBAL__N_17runRingIf10FuncMinMaxIfE7ProtoLLLi0ELi1ELi0EEEviiP15ncclDevWorkColl
	.type	_ZN12_GLOBAL__N_17runRingIf10FuncMinMaxIfE7ProtoLLLi0ELi1ELi0EEEviiP15ncclDevWorkColl,@function
_ZN12_GLOBAL__N_17runRingIf10FuncMinMaxIfE7ProtoLLLi0ELi1ELi0EEEviiP15ncclDevWorkColl: ; @_ZN12_GLOBAL__N_17runRingIf10FuncMinMaxIfE7ProtoLLLi0ELi1ELi0EEEviiP15ncclDevWorkColl
; %bb.0:
	s_waitcnt vmcnt(0) expcnt(0) lgkmcnt(0)
	s_cbranch_execnz .LBB0_15
; %bb.1:
	v_mov_b32_e32 v4, v0
	s_clause 0x2
	flat_load_b32 v0, v[2:3]
	flat_load_b128 v[5:8], v[2:3] offset:72
	flat_load_b64 v[19:20], v[2:3] offset:88
	s_mov_b32 s0, exec_lo
                                        ; implicit-def: $vgpr17_vgpr18
                                        ; implicit-def: $vgpr25_vgpr26
	s_waitcnt vmcnt(2) lgkmcnt(2)
	v_and_b32_e32 v11, 0xff, v0
	v_bfe_u32 v10, v0, 8, 8
	s_delay_alu instid0(VALU_DEP_2) | instskip(SKIP_3) | instid1(VALU_DEP_1)
	v_not_b32_e32 v0, v11
	ds_load_b32 v9, v0
	ds_load_b64 v[23:24], v0
	v_add_nc_u32_e32 v12, v10, v0
	v_ashrrev_i32_e32 v13, 31, v12
	s_waitcnt vmcnt(1) lgkmcnt(3)
	v_mul_lo_u32 v14, v8, v12
	v_mad_u64_u32 v[64:65], null, v7, v12, 0
	s_delay_alu instid0(VALU_DEP_3) | instskip(NEXT) | instid1(VALU_DEP_1)
	v_mul_lo_u32 v12, v7, v13
	v_add3_u32 v65, v65, v12, v14
	s_waitcnt lgkmcnt(1)
	v_readfirstlane_b32 s14, v9
	v_cmpx_ne_u32_e64 v11, v9
	s_xor_b32 s0, exec_lo, s0
	s_cbranch_execz .LBB0_7
; %bb.2:
	s_mov_b32 s1, exec_lo
                                        ; implicit-def: $vgpr17_vgpr18
                                        ; implicit-def: $vgpr25_vgpr26
	v_cmpx_ne_u32_e64 v10, v9
	s_xor_b32 s1, exec_lo, s1
	s_cbranch_execz .LBB0_4
; %bb.3:
	flat_load_b64 v[10:11], v[2:3] offset:96
	v_add_nc_u32_e32 v0, v9, v0
	s_delay_alu instid0(VALU_DEP_1) | instskip(SKIP_2) | instid1(VALU_DEP_3)
	v_ashrrev_i32_e32 v9, 31, v0
	v_mul_lo_u32 v12, v8, v0
	v_mad_u64_u32 v[25:26], null, v7, v0, v[5:6]
	v_mul_lo_u32 v9, v7, v9
	s_delay_alu instid0(VALU_DEP_1)
	v_add3_u32 v26, v12, v26, v9
	s_waitcnt vmcnt(0) lgkmcnt(0)
	v_lshrrev_b64 v[17:18], 19, v[10:11]
.LBB0_4:
	s_and_not1_saveexec_b32 s1, s1
	s_cbranch_execz .LBB0_6
; %bb.5:
	flat_load_b32 v0, v[2:3] offset:100
	v_add_co_u32 v25, vcc_lo, v64, v5
	v_add_co_ci_u32_e32 v26, vcc_lo, v65, v6, vcc_lo
	s_waitcnt vmcnt(1)
	v_dual_mov_b32 v7, v19 :: v_dual_mov_b32 v8, v20
	s_waitcnt vmcnt(0) lgkmcnt(0)
	v_lshrrev_b32_e32 v17, 8, v0
.LBB0_6:
	s_or_b32 exec_lo, exec_lo, s1
.LBB0_7:
	s_and_not1_saveexec_b32 s0, s0
	s_cbranch_execz .LBB0_9
; %bb.8:
	flat_load_b64 v[7:8], v[2:3] offset:96
	v_mov_b32_e32 v25, 0
	v_mov_b32_e32 v26, 0
	s_waitcnt vmcnt(0) lgkmcnt(0)
	v_lshlrev_b64 v[17:18], 2, v[7:8]
	v_dual_mov_b32 v8, v6 :: v_dual_mov_b32 v7, v5
.LBB0_9:
	s_or_b32 exec_lo, exec_lo, s0
	s_load_b32 s0, s[8:9], 0x0
	v_mov_b32_e32 v0, 0
	flat_load_b64 v[82:83], v[2:3] offset:104
	s_mov_b32 s2, 0
	s_waitcnt lgkmcnt(0)
	s_cmp_lt_u32 s12, s0
	s_cselect_b32 s0, 12, 18
	s_delay_alu instid0(SALU_CYCLE_1)
	s_add_u32 s0, s8, s0
	s_addc_u32 s1, s9, 0
	s_clause 0x2
	flat_load_b128 v[9:12], v[2:3] offset:16
	flat_load_u16 v14, v[2:3] offset:8
	flat_load_b32 v13, v[2:3] offset:4
	global_load_u16 v0, v0, s[0:1]
	s_cbranch_execnz .LBB0_17
; %bb.10:
	s_waitcnt vmcnt(0)
	ds_load_b32 v2, v0
	s_waitcnt lgkmcnt(1)
	v_lshrrev_b64 v[13:14], 31, v[13:14]
	s_delay_alu instid0(VALU_DEP_1)
	v_and_b32_e32 v14, 3, v13
	v_and_b32_e32 v13, 31, v4
	s_waitcnt lgkmcnt(0)
	v_cmp_gt_i32_e32 vcc_lo, 0, v2
	v_readfirstlane_b32 s1, v2
	s_cbranch_vccnz .LBB0_19
; %bb.11:
	v_cmp_eq_u32_e32 vcc_lo, 0, v13
	s_cbranch_execnz .LBB0_23
; %bb.12:
	ds_load_b64 v[15:16], v0
	v_dual_mov_b32 v3, 0 :: v_dual_and_b32 v18, 0xffff, v14
	s_mov_b32 s2, 1
	s_delay_alu instid0(VALU_DEP_1) | instskip(SKIP_1) | instid1(VALU_DEP_1)
	v_lshlrev_b64 v[2:3], 3, v[2:3]
	s_waitcnt lgkmcnt(0)
	v_add_co_u32 v2, s0, v15, v2
	s_delay_alu instid0(VALU_DEP_1)
	v_add_co_ci_u32_e64 v3, s0, v16, v3, s0
	flat_load_b64 v[2:3], v[2:3]
	s_waitcnt vmcnt(0) lgkmcnt(0)
	v_mad_u64_u32 v[15:16], null, 0xa8, v18, v[2:3]
	s_clause 0x1
	flat_load_b64 v[29:30], v[15:16] offset:504
	flat_load_b64 v[32:33], v[15:16] offset:608
	v_add_co_u32 v2, s0, 0x1f8, v15
	s_delay_alu instid0(VALU_DEP_1) | instskip(NEXT) | instid1(VALU_DEP_1)
	v_add_co_ci_u32_e64 v3, s0, 0, v16, s0
	v_dual_cndmask_b32 v27, 0, v2 :: v_dual_cndmask_b32 v28, 0, v3
	s_cbranch_execz .LBB0_20
.LBB0_13:
	s_trap 2
	s_sendmsg_rtn_b32 s0, sendmsg(MSG_RTN_GET_DOORBELL)
	s_mov_b32 ttmp2, m0
	s_waitcnt lgkmcnt(0)
	s_and_b32 s0, s0, 0x3ff
	s_delay_alu instid0(SALU_CYCLE_1) | instskip(NEXT) | instid1(SALU_CYCLE_1)
	s_bitset1_b32 s0, 10
	s_mov_b32 m0, s0
	s_sendmsg sendmsg(MSG_INTERRUPT)
	s_mov_b32 m0, ttmp2
.LBB0_14:                               ; =>This Inner Loop Header: Depth=1
	s_sethalt 5
	s_branch .LBB0_14
.LBB0_15:
	s_trap 2
	s_sendmsg_rtn_b32 s0, sendmsg(MSG_RTN_GET_DOORBELL)
	s_mov_b32 ttmp2, m0
	s_waitcnt lgkmcnt(0)
	s_and_b32 s0, s0, 0x3ff
	s_delay_alu instid0(SALU_CYCLE_1) | instskip(NEXT) | instid1(SALU_CYCLE_1)
	s_bitset1_b32 s0, 10
	s_mov_b32 m0, s0
	s_sendmsg sendmsg(MSG_INTERRUPT)
	s_mov_b32 m0, ttmp2
.LBB0_16:                               ; =>This Inner Loop Header: Depth=1
	s_sethalt 5
	s_branch .LBB0_16
.LBB0_17:
	s_trap 2
	s_sendmsg_rtn_b32 s0, sendmsg(MSG_RTN_GET_DOORBELL)
	s_mov_b32 ttmp2, m0
	s_waitcnt lgkmcnt(0)
	s_and_b32 s0, s0, 0x3ff
	s_delay_alu instid0(SALU_CYCLE_1) | instskip(NEXT) | instid1(SALU_CYCLE_1)
	s_bitset1_b32 s0, 10
	s_mov_b32 m0, s0
	s_sendmsg sendmsg(MSG_INTERRUPT)
	s_mov_b32 m0, ttmp2
.LBB0_18:                               ; =>This Inner Loop Header: Depth=1
	s_sethalt 5
	s_branch .LBB0_18
.LBB0_19:
	v_mov_b32_e32 v27, 0
	v_mov_b32_e32 v28, 0
                                        ; implicit-def: $vgpr32_vgpr33
                                        ; implicit-def: $vgpr29_vgpr30
	s_cbranch_execnz .LBB0_13
.LBB0_20:
	ds_load_b32 v2, v0
	v_mov_b32_e32 v36, 0
	v_mov_b32_e32 v37, 0
	s_waitcnt lgkmcnt(0)
	v_cmp_gt_i32_e32 vcc_lo, 0, v2
	s_cbranch_vccnz .LBB0_25
; %bb.21:
	s_cbranch_execnz .LBB0_235
; %bb.22:
	ds_load_b64 v[15:16], v0
	v_mov_b32_e32 v3, 0
	s_delay_alu instid0(VALU_DEP_1) | instskip(SKIP_1) | instid1(VALU_DEP_1)
	v_lshlrev_b64 v[2:3], 3, v[2:3]
	s_waitcnt lgkmcnt(0)
	v_add_co_u32 v2, vcc_lo, v15, v2
	s_delay_alu instid0(VALU_DEP_2)
	v_add_co_ci_u32_e32 v3, vcc_lo, v16, v3, vcc_lo
	v_and_b32_e32 v16, 0xffff, v14
	v_cmp_eq_u32_e32 vcc_lo, 0, v13
	flat_load_b64 v[2:3], v[2:3]
	s_waitcnt vmcnt(0) lgkmcnt(0)
	v_mad_u64_u32 v[14:15], null, 0xa8, v16, v[2:3]
	s_clause 0x1
	flat_load_b64 v[38:39], v[14:15]
	flat_load_b64 v[21:22], v[14:15] offset:104
	v_dual_cndmask_b32 v35, 0, v15 :: v_dual_cndmask_b32 v34, 0, v14
	s_branch .LBB0_26
.LBB0_23:
	s_trap 2
	s_sendmsg_rtn_b32 s0, sendmsg(MSG_RTN_GET_DOORBELL)
	s_mov_b32 ttmp2, m0
	s_waitcnt lgkmcnt(0)
	s_and_b32 s0, s0, 0x3ff
	s_delay_alu instid0(SALU_CYCLE_1) | instskip(NEXT) | instid1(SALU_CYCLE_1)
	s_bitset1_b32 s0, 10
	s_mov_b32 m0, s0
	s_sendmsg sendmsg(MSG_INTERRUPT)
	s_mov_b32 m0, ttmp2
.LBB0_24:                               ; =>This Inner Loop Header: Depth=1
	s_sethalt 5
	s_branch .LBB0_24
.LBB0_25:
	s_delay_alu instid0(VALU_DEP_2)
	v_dual_mov_b32 v34, v36 :: v_dual_mov_b32 v35, v37
                                        ; implicit-def: $vgpr21_vgpr22
                                        ; implicit-def: $vgpr38_vgpr39
.LBB0_26:
	v_subrev_nc_u32_e32 v2, 32, v1
	v_cmp_gt_u32_e64 s0, s2, v13
                                        ; implicit-def: $vgpr48_vgpr49
	s_delay_alu instid0(VALU_DEP_2) | instskip(NEXT) | instid1(VALU_DEP_2)
	v_cmp_le_i32_e32 vcc_lo, v2, v4
	s_and_b32 s13, vcc_lo, s0
	s_delay_alu instid0(SALU_CYCLE_1)
	s_and_saveexec_b32 s0, s13
; %bb.27:
	s_clause 0x1
	flat_load_b64 v[36:37], v[27:28] offset:56
	flat_load_b64 v[48:49], v[27:28] offset:104
; %bb.28:
	s_or_b32 exec_lo, exec_lo, s0
	v_mov_b32_e32 v2, 0
	v_mov_b32_e32 v3, 0
	v_cmp_gt_i32_e64 s0, s2, v4
                                        ; implicit-def: $vgpr52_vgpr53
	s_delay_alu instid0(VALU_DEP_2) | instskip(SKIP_1) | instid1(VALU_DEP_3)
	v_dual_mov_b32 v14, v3 :: v_dual_mov_b32 v13, v2
	v_dual_mov_b32 v51, v3 :: v_dual_mov_b32 v50, v2
	s_and_saveexec_b32 s2, s0
	s_cbranch_execz .LBB0_30
; %bb.29:
	flat_load_b64 v[50:51], v[34:35] offset:56
	s_waitcnt vmcnt(0) lgkmcnt(0)
	flat_load_b64 v[52:53], v[50:51] glc dlc
	s_waitcnt vmcnt(0)
	flat_load_b128 v[13:16], v[34:35] offset:96
.LBB0_30:
	s_or_b32 exec_lo, exec_lo, s2
	v_and_b32_e32 v0, 0xffff, v0
	s_mov_b32 s16, exec_lo
	v_cmpx_ne_u64_e32 0, v[7:8]
	s_cbranch_execz .LBB0_223
; %bb.31:
	v_add_co_u32 v2, vcc_lo, v19, v5
	s_ashr_i32 s2, s1, 31
	v_add_co_ci_u32_e32 v3, vcc_lo, v20, v6, vcc_lo
	s_delay_alu instid0(VALU_DEP_2)
	v_add_co_u32 v64, vcc_lo, v2, v64
	v_ashrrev_i32_e32 v2, 31, v1
	s_lshr_b32 s2, s2, 29
	s_ashr_i32 s15, s14, 31
	s_add_i32 s1, s1, s2
	s_lshl_b64 s[2:3], s[14:15], 2
	v_add_co_ci_u32_e32 v65, vcc_lo, v3, v65, vcc_lo
	v_add_co_u32 v3, vcc_lo, v23, s2
	v_lshrrev_b32_e32 v6, 27, v2
	v_add_co_ci_u32_e32 v5, vcc_lo, s3, v24, vcc_lo
	v_mov_b32_e32 v118, 0
	s_delay_alu instid0(VALU_DEP_4) | instskip(NEXT) | instid1(VALU_DEP_4)
	v_add_co_u32 v66, vcc_lo, v3, -4
	v_add_nc_u32_e32 v3, v1, v6
	s_delay_alu instid0(VALU_DEP_3) | instskip(SKIP_2) | instid1(VALU_DEP_3)
	v_dual_mov_b32 v83, v118 :: v_dual_lshlrev_b32 v68, 1, v4
	v_dual_mov_b32 v19, v118 :: v_dual_lshlrev_b32 v70, 1, v1
	v_add_co_ci_u32_e32 v67, vcc_lo, -1, v5, vcc_lo
	v_ashrrev_i32_e32 v69, 31, v68
	v_and_b32_e32 v5, 31, v31
	s_delay_alu instid0(VALU_DEP_4)
	v_ashrrev_i32_e32 v71, 31, v70
	v_and_b32_e32 v18, 1, v82
	v_and_b32_e32 v82, 3, v9
	v_lshlrev_b64 v[80:81], 2, v[68:69]
	v_ashrrev_i32_e32 v119, 5, v3
	v_lshlrev_b64 v[86:87], 2, v[70:71]
	v_mov_b32_e32 v71, 1
	v_cmp_eq_u64_e64 s8, 0, v[82:83]
	v_mov_b32_e32 v82, 0
	v_cmp_eq_u32_e64 s5, 0, v5
	v_ashrrev_i32_e32 v5, 31, v4
	v_add_co_u32 v128, vcc_lo, v11, v80
	v_add_co_ci_u32_e32 v129, vcc_lo, v12, v81, vcc_lo
	s_delay_alu instid0(VALU_DEP_3) | instskip(SKIP_4) | instid1(VALU_DEP_4)
	v_lshlrev_b64 v[5:6], 4, v[4:5]
	v_add_co_u32 v130, vcc_lo, v9, v80
	v_add_co_ci_u32_e32 v131, vcc_lo, v10, v81, vcc_lo
	v_lshlrev_b64 v[9:10], 2, v[25:26]
	s_waitcnt vmcnt(1) lgkmcnt(1)
	v_add_co_u32 v132, vcc_lo, v38, v5
	v_add_co_ci_u32_e32 v133, vcc_lo, v39, v6, vcc_lo
	v_lshlrev_b64 v[5:6], 4, v[1:2]
	s_delay_alu instid0(VALU_DEP_4)
	v_add_co_u32 v2, vcc_lo, v9, v80
	v_add_co_ci_u32_e32 v3, vcc_lo, v10, v81, vcc_lo
	v_dual_mov_b32 v55, v118 :: v_dual_and_b32 v54, 0x7ffffc, v17
	v_mov_b32_e32 v83, 0
	v_lshlrev_b32_e32 v17, 2, v17
	v_add_co_u32 v9, vcc_lo, v11, v2
	s_ashr_i32 s4, s1, 3
	s_ashr_i32 s17, s1, 7
	v_cmp_ne_u64_e64 s1, 0, v[50:51]
	s_waitcnt vmcnt(0) lgkmcnt(0)
	v_cmp_ne_u64_e64 s2, 0, v[13:14]
	v_cmp_ne_u64_e64 s7, 0, v[36:37]
	v_cmp_eq_u64_e64 s9, 0, v[18:19]
	v_add_co_ci_u32_e32 v10, vcc_lo, v12, v3, vcc_lo
	v_mov_b32_e32 v2, v82
	v_lshlrev_b64 v[84:85], 2, v[64:65]
	s_and_b32 s15, s4, -16
	v_cmp_ne_u32_e64 s3, 32, v1
	v_cmp_ne_u32_e64 s4, v0, v1
	v_ashrrev_i32_e32 v69, 31, v119
	v_cmp_eq_u32_e64 s6, 1, v18
	v_dual_mov_b32 v135, 0 :: v_dual_and_b32 v134, 0x1fffff0, v17
	v_mov_b32_e32 v3, v83
	s_cmp_gt_i32 s14, 2
	s_mov_b32 s18, 0
	s_cselect_b32 s19, -1, 0
.LBB0_32:                               ; =>This Loop Header: Depth=1
                                        ;     Child Loop BB0_39 Depth 2
                                        ;     Child Loop BB0_59 Depth 2
                                        ;     Child Loop BB0_75 Depth 2
                                        ;     Child Loop BB0_80 Depth 2
                                        ;     Child Loop BB0_83 Depth 2
                                        ;       Child Loop BB0_90 Depth 3
                                        ;       Child Loop BB0_110 Depth 3
	;; [unrolled: 1-line block ×3, first 2 shown]
                                        ;         Child Loop BB0_134 Depth 4
                                        ;       Child Loop BB0_152 Depth 3
                                        ;       Child Loop BB0_169 Depth 3
                                        ;     Child Loop BB0_174 Depth 2
                                        ;       Child Loop BB0_180 Depth 3
                                        ;     Child Loop BB0_206 Depth 2
	s_waitcnt vmcnt(0) lgkmcnt(0)
	flat_load_b32 v19, v[66:67]
	v_sub_co_u32 v17, vcc_lo, v7, v82
	v_sub_co_ci_u32_e32 v18, vcc_lo, v8, v83, vcc_lo
	s_delay_alu instid0(VALU_DEP_1) | instskip(SKIP_1) | instid1(VALU_DEP_1)
	v_cmp_lt_u64_e32 vcc_lo, v[54:55], v[17:18]
	v_cndmask_b32_e32 v20, v17, v54, vcc_lo
	v_lshl_add_u32 v17, v20, 3, 8
	s_delay_alu instid0(VALU_DEP_1)
	v_and_b32_e32 v145, 0x7fffff0, v17
	s_and_saveexec_b32 s10, s1
	s_cbranch_execz .LBB0_50
; %bb.33:                               ;   in Loop: Header=BB0_32 Depth=1
	v_add_co_u32 v17, vcc_lo, v15, 1
	v_add_co_ci_u32_e32 v18, vcc_lo, 0, v16, vcc_lo
	v_add_co_u32 v96, vcc_lo, v52, 8
	v_add_co_ci_u32_e32 v97, vcc_lo, 0, v53, vcc_lo
	s_mov_b32 s11, exec_lo
	s_delay_alu instid0(VALU_DEP_1)
	v_cmpx_lt_u64_e64 v[96:97], v[17:18]
	s_cbranch_execz .LBB0_47
; %bb.34:                               ;   in Loop: Header=BB0_32 Depth=1
	s_sleep 1
	flat_load_b64 v[52:53], v[50:51] glc
	v_cmp_eq_u32_e32 vcc_lo, 0, v135
	s_and_saveexec_b32 s12, vcc_lo
	s_cbranch_execz .LBB0_46
; %bb.35:                               ;   in Loop: Header=BB0_32 Depth=1
	v_cndmask_b32_e64 v16, 0, 1, vcc_lo
	s_mov_b32 s20, 0
                                        ; implicit-def: $sgpr21
	s_branch .LBB0_39
.LBB0_36:                               ;   in Loop: Header=BB0_39 Depth=2
	s_or_b32 exec_lo, exec_lo, s24
	s_delay_alu instid0(SALU_CYCLE_1)
	s_or_not1_b32 s24, s25, exec_lo
.LBB0_37:                               ;   in Loop: Header=BB0_39 Depth=2
	s_or_b32 exec_lo, exec_lo, s23
	s_xor_b32 s23, s24, -1
	s_and_not1_b32 s21, s21, exec_lo
	s_and_b32 s23, s23, exec_lo
	s_delay_alu instid0(SALU_CYCLE_1)
	s_or_b32 s21, s21, s23
.LBB0_38:                               ;   in Loop: Header=BB0_39 Depth=2
	s_or_b32 exec_lo, exec_lo, s22
	s_delay_alu instid0(SALU_CYCLE_1) | instskip(NEXT) | instid1(SALU_CYCLE_1)
	s_and_b32 s22, exec_lo, s21
	s_or_b32 s20, s22, s20
	s_delay_alu instid0(SALU_CYCLE_1)
	s_and_not1_b32 exec_lo, exec_lo, s20
	s_cbranch_execz .LBB0_45
.LBB0_39:                               ;   Parent Loop BB0_32 Depth=1
                                        ; =>  This Inner Loop Header: Depth=2
	s_waitcnt vmcnt(0) lgkmcnt(0)
	v_add_co_u32 v96, vcc_lo, v52, 8
	v_add_co_ci_u32_e32 v97, vcc_lo, 0, v53, vcc_lo
	v_mov_b32_e32 v135, 0
	s_or_b32 s21, s21, exec_lo
	s_mov_b32 s22, exec_lo
	s_delay_alu instid0(VALU_DEP_2)
	v_cmpx_lt_u64_e64 v[96:97], v[17:18]
	s_cbranch_execz .LBB0_38
; %bb.40:                               ;   in Loop: Header=BB0_39 Depth=2
	s_sleep 1
	flat_load_b64 v[52:53], v[50:51] glc
	v_dual_mov_b32 v135, 0 :: v_dual_add_nc_u32 v16, 1, v16
	s_mov_b32 s24, -1
	s_mov_b32 s23, exec_lo
	s_delay_alu instid0(VALU_DEP_1)
	v_cmpx_eq_u32_e32 0x2710, v16
	s_cbranch_execz .LBB0_37
; %bb.41:                               ;   in Loop: Header=BB0_39 Depth=2
	s_cbranch_execnz .LBB0_241
; %bb.42:                               ;   in Loop: Header=BB0_39 Depth=2
	ds_load_b64 v[96:97], v0
	v_dual_mov_b32 v16, 0 :: v_dual_mov_b32 v135, 0
	s_mov_b32 s25, -1
	s_mov_b32 s24, exec_lo
	s_waitcnt vmcnt(0) lgkmcnt(0)
	s_waitcnt_vscnt null, 0x0
	flat_load_b32 v96, v[96:97] glc
	s_waitcnt vmcnt(0) lgkmcnt(0)
	buffer_gl1_inv
	buffer_gl0_inv
	v_cmpx_ne_u32_e32 0, v96
	s_cbranch_execz .LBB0_36
; %bb.43:                               ;   in Loop: Header=BB0_39 Depth=2
	ds_store_b32 v0, v96
	s_cbranch_execnz .LBB0_266
; %bb.44:                               ;   in Loop: Header=BB0_39 Depth=2
	v_mov_b32_e32 v135, 1
	s_xor_b32 s25, exec_lo, -1
	s_branch .LBB0_36
.LBB0_45:                               ;   in Loop: Header=BB0_32 Depth=1
	s_or_b32 exec_lo, exec_lo, s20
.LBB0_46:                               ;   in Loop: Header=BB0_32 Depth=1
	s_delay_alu instid0(SALU_CYCLE_1)
	s_or_b32 exec_lo, exec_lo, s12
.LBB0_47:                               ;   in Loop: Header=BB0_32 Depth=1
	s_delay_alu instid0(SALU_CYCLE_1)
	s_or_b32 exec_lo, exec_lo, s11
	s_and_saveexec_b32 s11, s2
	s_cbranch_execz .LBB0_49
; %bb.48:                               ;   in Loop: Header=BB0_32 Depth=1
	v_dual_mov_b32 v97, v118 :: v_dual_and_b32 v96, 0x7ffffff8, v15
	v_and_b32_e32 v16, 7, v15
	s_delay_alu instid0(VALU_DEP_2) | instskip(NEXT) | instid1(VALU_DEP_2)
	v_cmp_eq_u64_e32 vcc_lo, 0x7ffffff8, v[96:97]
	v_mad_u64_u32 v[96:97], null, v16, 24, v[13:14]
	v_cndmask_b32_e64 v15, v145, s15, vcc_lo
	s_delay_alu instid0(VALU_DEP_1)
	v_ashrrev_i32_e32 v16, 31, v15
	flat_store_b64 v[96:97], v[15:16] offset:8 dlc
	s_waitcnt_vscnt null, 0x0
.LBB0_49:                               ;   in Loop: Header=BB0_32 Depth=1
	s_or_b32 exec_lo, exec_lo, s11
	v_dual_mov_b32 v15, v17 :: v_dual_mov_b32 v16, v18
.LBB0_50:                               ;   in Loop: Header=BB0_32 Depth=1
	s_or_b32 exec_lo, exec_lo, s10
	s_and_saveexec_b32 s10, s3
	s_cbranch_execz .LBB0_72
; %bb.51:                               ;   in Loop: Header=BB0_32 Depth=1
	s_and_saveexec_b32 s11, s4
	s_delay_alu instid0(SALU_CYCLE_1)
	s_xor_b32 s11, exec_lo, s11
	s_cbranch_execz .LBB0_69
; %bb.52:                               ;   in Loop: Header=BB0_32 Depth=1
	s_and_saveexec_b32 s12, s5
	s_cbranch_execz .LBB0_68
; %bb.53:                               ;   in Loop: Header=BB0_32 Depth=1
	s_mov_b32 s21, exec_lo
	s_mov_b32 s20, exec_lo
	v_mbcnt_lo_u32_b32 v17, s21, 0
	s_waitcnt vmcnt(0) lgkmcnt(0)
	s_waitcnt_vscnt null, 0x0
	buffer_gl1_inv
	buffer_gl0_inv
	v_cmpx_eq_u32_e32 0, v17
	s_cbranch_execz .LBB0_55
; %bb.54:                               ;   in Loop: Header=BB0_32 Depth=1
	s_bcnt1_i32_b32 s21, s21
	s_delay_alu instid0(SALU_CYCLE_1)
	v_dual_mov_b32 v18, v118 :: v_dual_mov_b32 v17, s21
	ds_add_u64 v0, v[17:18]
	s_cbranch_execnz .LBB0_260
.LBB0_55:                               ;   in Loop: Header=BB0_32 Depth=1
	s_or_b32 exec_lo, exec_lo, s20
	s_cbranch_execnz .LBB0_247
; %bb.56:                               ;   in Loop: Header=BB0_32 Depth=1
	ds_load_b64 v[17:18], v0
	v_add_co_u32 v2, vcc_lo, v2, v119
	v_add_co_ci_u32_e32 v3, vcc_lo, v3, v69, vcc_lo
	s_mov_b32 s20, exec_lo
	s_waitcnt lgkmcnt(0)
	s_delay_alu instid0(VALU_DEP_1)
	v_cmpx_lt_u64_e64 v[17:18], v[2:3]
	s_cbranch_execz .LBB0_67
; %bb.57:                               ;   in Loop: Header=BB0_32 Depth=1
	s_mov_b32 s21, 0
	s_mov_b32 s24, 0
                                        ; implicit-def: $sgpr22
                                        ; implicit-def: $sgpr23
	s_branch .LBB0_59
.LBB0_58:                               ;   in Loop: Header=BB0_59 Depth=2
	s_or_b32 exec_lo, exec_lo, s27
	s_delay_alu instid0(SALU_CYCLE_1) | instskip(NEXT) | instid1(SALU_CYCLE_1)
	s_and_b32 s25, exec_lo, s26
	s_or_b32 s21, s25, s21
	s_and_not1_b32 s22, s22, exec_lo
	s_and_b32 s25, s23, exec_lo
	s_delay_alu instid0(SALU_CYCLE_1)
	s_or_b32 s22, s22, s25
	s_and_not1_b32 exec_lo, exec_lo, s21
	s_cbranch_execz .LBB0_65
.LBB0_59:                               ;   Parent Loop BB0_32 Depth=1
                                        ; =>  This Inner Loop Header: Depth=2
	s_add_i32 s24, s24, 1
                                        ; implicit-def: $sgpr26
	s_delay_alu instid0(SALU_CYCLE_1) | instskip(SKIP_1) | instid1(SALU_CYCLE_1)
	s_cmpk_lg_i32 s24, 0x2710
	s_cselect_b32 s25, -1, 0
	s_and_b32 vcc_lo, exec_lo, s25
	s_cbranch_vccz .LBB0_63
.LBB0_60:                               ;   in Loop: Header=BB0_59 Depth=2
	s_and_not1_b32 s23, s23, exec_lo
	s_and_b32 s27, s26, exec_lo
	s_mov_b32 s26, -1
	s_or_b32 s23, s23, s27
	s_and_saveexec_b32 s27, s25
	s_cbranch_execz .LBB0_58
; %bb.61:                               ;   in Loop: Header=BB0_59 Depth=2
	s_sleep 1
	s_cbranch_execnz .LBB0_274
; %bb.62:                               ;   in Loop: Header=BB0_59 Depth=2
	ds_load_b64 v[17:18], v0
	s_and_not1_b32 s23, s23, exec_lo
	s_waitcnt lgkmcnt(0)
	v_cmp_ge_u64_e32 vcc_lo, v[17:18], v[2:3]
	s_or_not1_b32 s26, vcc_lo, exec_lo
	s_branch .LBB0_58
.LBB0_63:                               ;   in Loop: Header=BB0_59 Depth=2
	s_cbranch_execnz .LBB0_282
; %bb.64:                               ;   in Loop: Header=BB0_59 Depth=2
	ds_load_b64 v[17:18], v0
	s_and_not1_b32 s25, s25, exec_lo
	s_mov_b32 s24, 0
	s_mov_b32 s26, -1
	s_waitcnt lgkmcnt(0)
	flat_load_b32 v17, v[17:18] glc
	s_waitcnt vmcnt(0) lgkmcnt(0)
	buffer_gl1_inv
	buffer_gl0_inv
	v_cmp_eq_u32_e32 vcc_lo, 0, v17
	s_and_b32 s27, vcc_lo, exec_lo
	s_delay_alu instid0(SALU_CYCLE_1)
	s_or_b32 s25, s25, s27
	s_branch .LBB0_60
.LBB0_65:                               ;   in Loop: Header=BB0_32 Depth=1
	s_or_b32 exec_lo, exec_lo, s21
	s_and_saveexec_b32 s21, s22
	s_delay_alu instid0(SALU_CYCLE_1)
	s_xor_b32 s21, exec_lo, s21
	s_cbranch_execz .LBB0_67
; %bb.66:                               ;   in Loop: Header=BB0_32 Depth=1
	ds_store_b32 v0, v71
	s_cbranch_execnz .LBB0_307
.LBB0_67:                               ;   in Loop: Header=BB0_32 Depth=1
	s_or_b32 exec_lo, exec_lo, s20
	;;#ASMSTART
	s_wakeup
	;;#ASMEND
.LBB0_68:                               ;   in Loop: Header=BB0_32 Depth=1
	s_or_b32 exec_lo, exec_lo, s12
.LBB0_69:                               ;   in Loop: Header=BB0_32 Depth=1
	s_and_not1_saveexec_b32 s11, s11
	s_cbranch_execz .LBB0_71
; %bb.70:                               ;   in Loop: Header=BB0_32 Depth=1
	s_waitcnt vmcnt(0) lgkmcnt(0)
	s_waitcnt_vscnt null, 0x0
	buffer_gl1_inv
	buffer_gl0_inv
	s_barrier
.LBB0_71:                               ;   in Loop: Header=BB0_32 Depth=1
	s_or_b32 exec_lo, exec_lo, s11
.LBB0_72:                               ;   in Loop: Header=BB0_32 Depth=1
	s_delay_alu instid0(SALU_CYCLE_1) | instskip(SKIP_2) | instid1(VALU_DEP_2)
	s_or_b32 exec_lo, exec_lo, s10
	v_sub_nc_u32_e32 v144, v20, v68
	v_mov_b32_e32 v96, v4
	v_cmp_lt_i32_e64 s10, 0, v144
	s_delay_alu instid0(VALU_DEP_1)
	s_and_saveexec_b32 s12, s10
	s_cbranch_execz .LBB0_78
; %bb.73:                               ;   in Loop: Header=BB0_32 Depth=1
	v_dual_mov_b32 v100, v21 :: v_dual_and_b32 v17, 7, v21
	s_waitcnt vmcnt(0) lgkmcnt(0)
	v_ashrrev_i32_e32 v20, 31, v19
	v_mad_u64_u32 v[97:98], null, v84, v19, v[9:10]
	s_delay_alu instid0(VALU_DEP_3) | instskip(SKIP_1) | instid1(VALU_DEP_4)
	v_mul_lo_u32 v17, v17, s17
	v_mul_lo_u32 v96, v85, v19
	;; [unrolled: 1-line block ×3, first 2 shown]
	v_add_co_u32 v112, vcc_lo, 0, 0
	v_mov_b32_e32 v103, v144
	s_mov_b32 s20, 0
                                        ; implicit-def: $vgpr101_vgpr102
	v_ashrrev_i32_e32 v18, 31, v17
	s_delay_alu instid0(VALU_DEP_4) | instskip(SKIP_1) | instid1(VALU_DEP_3)
	v_add3_u32 v98, v96, v98, v99
	v_mov_b32_e32 v96, v4
	v_lshlrev_b64 v[19:20], 4, v[17:18]
	v_add_co_ci_u32_e32 v18, vcc_lo, 1, v100, vcc_lo
	s_delay_alu instid0(VALU_DEP_2) | instskip(NEXT) | instid1(VALU_DEP_3)
	v_add_co_u32 v99, vcc_lo, v132, v19
	v_add_co_ci_u32_e32 v100, vcc_lo, v133, v20, vcc_lo
	s_set_inst_prefetch_distance 0x1
	s_branch .LBB0_75
	.p2align	6
.LBB0_74:                               ;   in Loop: Header=BB0_75 Depth=2
	s_or_b32 exec_lo, exec_lo, s11
	s_waitcnt vmcnt(0) lgkmcnt(0)
	v_dual_mov_b32 v19, v102 :: v_dual_add_nc_u32 v96, v96, v1
	v_or_b32_e32 v17, v112, v17
	v_mov_b32_e32 v20, v18
	v_sub_nc_u32_e32 v103, v103, v70
	s_delay_alu instid0(VALU_DEP_4) | instskip(SKIP_1) | instid1(VALU_DEP_1)
	v_or_b32_e32 v19, v19, v112
	v_add_co_u32 v97, s11, v97, v86
	v_add_co_ci_u32_e64 v98, s11, v98, v87, s11
	global_store_b128 v[99:100], v[17:20], off
	v_add_co_u32 v99, vcc_lo, v99, v5
	v_add_co_ci_u32_e32 v100, vcc_lo, v100, v6, vcc_lo
	v_cmp_gt_i32_e32 vcc_lo, 1, v103
	s_or_b32 s20, vcc_lo, s20
	s_delay_alu instid0(SALU_CYCLE_1)
	s_and_not1_b32 exec_lo, exec_lo, s20
	s_cbranch_execz .LBB0_77
.LBB0_75:                               ;   Parent Loop BB0_32 Depth=1
                                        ; =>  This Inner Loop Header: Depth=2
	flat_load_b32 v17, v[97:98] glc
	s_mov_b32 s11, exec_lo
	v_cmpx_ne_u32_e32 1, v103
	s_cbranch_execz .LBB0_74
; %bb.76:                               ;   in Loop: Header=BB0_75 Depth=2
	flat_load_b32 v102, v[97:98] offset:4 glc
	s_branch .LBB0_74
.LBB0_77:                               ;   in Loop: Header=BB0_32 Depth=1
	s_set_inst_prefetch_distance 0x2
	s_or_b32 exec_lo, exec_lo, s20
.LBB0_78:                               ;   in Loop: Header=BB0_32 Depth=1
	s_delay_alu instid0(SALU_CYCLE_1) | instskip(SKIP_2) | instid1(VALU_DEP_2)
	s_or_b32 exec_lo, exec_lo, s12
	v_dual_mov_b32 v18, v118 :: v_dual_and_b32 v17, 0x7ffffff8, v21
	v_cmp_gt_i32_e64 s11, s17, v96
	v_cmp_eq_u64_e32 vcc_lo, 0x7ffffff8, v[17:18]
	s_delay_alu instid0(VALU_DEP_2) | instskip(NEXT) | instid1(SALU_CYCLE_1)
	s_and_b32 s11, vcc_lo, s11
	s_and_saveexec_b32 s12, s11
	s_cbranch_execz .LBB0_81
; %bb.79:                               ;   in Loop: Header=BB0_32 Depth=1
	v_and_b32_e32 v17, 7, v21
	v_ashrrev_i32_e32 v97, 31, v96
	s_mov_b32 s20, 0
	s_delay_alu instid0(VALU_DEP_2) | instskip(SKIP_1) | instid1(VALU_DEP_2)
	v_mul_lo_u32 v17, v17, s17
	s_waitcnt vmcnt(0) lgkmcnt(0)
	v_lshlrev_b64 v[19:20], 4, v[96:97]
	v_mov_b32_e32 v97, v21
	s_delay_alu instid0(VALU_DEP_3) | instskip(NEXT) | instid1(VALU_DEP_1)
	v_ashrrev_i32_e32 v18, 31, v17
	v_lshlrev_b64 v[17:18], 4, v[17:18]
	s_delay_alu instid0(VALU_DEP_1) | instskip(NEXT) | instid1(VALU_DEP_2)
	v_add_co_u32 v19, vcc_lo, v19, v17
	v_add_co_ci_u32_e32 v20, vcc_lo, v20, v18, vcc_lo
	v_add_co_u32 v17, vcc_lo, 0, 0
	v_add_co_ci_u32_e32 v18, vcc_lo, 1, v97, vcc_lo
	s_delay_alu instid0(VALU_DEP_4) | instskip(NEXT) | instid1(VALU_DEP_4)
	v_add_co_u32 v97, vcc_lo, v38, v19
	v_add_co_ci_u32_e32 v98, vcc_lo, v39, v20, vcc_lo
.LBB0_80:                               ;   Parent Loop BB0_32 Depth=1
                                        ; =>  This Inner Loop Header: Depth=2
	s_delay_alu instid0(VALU_DEP_4) | instskip(NEXT) | instid1(VALU_DEP_4)
	v_dual_mov_b32 v19, v17 :: v_dual_add_nc_u32 v96, v96, v1
	v_mov_b32_e32 v20, v18
	s_delay_alu instid0(VALU_DEP_2) | instskip(SKIP_2) | instid1(VALU_DEP_1)
	v_cmp_le_i32_e32 vcc_lo, s17, v96
	global_store_b128 v[97:98], v[17:20], off
	v_add_co_u32 v97, s11, v97, v5
	v_add_co_ci_u32_e64 v98, s11, v98, v6, s11
	s_or_b32 s20, vcc_lo, s20
	s_delay_alu instid0(SALU_CYCLE_1)
	s_and_not1_b32 exec_lo, exec_lo, s20
	s_cbranch_execnz .LBB0_80
.LBB0_81:                               ;   in Loop: Header=BB0_32 Depth=1
	s_or_b32 exec_lo, exec_lo, s12
	v_add_co_u32 v96, vcc_lo, v82, v25
	v_add_co_ci_u32_e32 v97, vcc_lo, v83, v26, vcc_lo
	v_add_co_u32 v98, vcc_lo, v21, 1
	v_add_co_ci_u32_e32 v99, vcc_lo, 0, v22, vcc_lo
	s_and_not1_b32 vcc_lo, exec_lo, s19
	s_cbranch_vccnz .LBB0_171
; %bb.82:                               ;   in Loop: Header=BB0_32 Depth=1
	v_lshlrev_b64 v[17:18], 2, v[96:97]
	v_add_nc_u16 v148, v21, 1
	s_mov_b32 s20, 2
	s_delay_alu instid0(VALU_DEP_2) | instskip(NEXT) | instid1(VALU_DEP_3)
	v_add_co_u32 v146, vcc_lo, v128, v17
	v_add_co_ci_u32_e32 v147, vcc_lo, v129, v18, vcc_lo
.LBB0_83:                               ;   Parent Loop BB0_32 Depth=1
                                        ; =>  This Loop Header: Depth=2
                                        ;       Child Loop BB0_90 Depth 3
                                        ;       Child Loop BB0_110 Depth 3
	;; [unrolled: 1-line block ×3, first 2 shown]
                                        ;         Child Loop BB0_134 Depth 4
                                        ;       Child Loop BB0_152 Depth 3
                                        ;       Child Loop BB0_169 Depth 3
	s_sub_i32 s22, s14, s20
	s_delay_alu instid0(SALU_CYCLE_1) | instskip(NEXT) | instid1(SALU_CYCLE_1)
	s_ashr_i32 s23, s22, 31
	s_lshl_b64 s[22:23], s[22:23], 2
	s_delay_alu instid0(SALU_CYCLE_1)
	v_add_co_u32 v17, vcc_lo, v23, s22
	v_add_co_ci_u32_e32 v18, vcc_lo, s23, v24, vcc_lo
	s_waitcnt vmcnt(0) lgkmcnt(0)
	flat_load_b32 v19, v[17:18]
	s_and_saveexec_b32 s11, s1
	s_cbranch_execz .LBB0_101
; %bb.84:                               ;   in Loop: Header=BB0_83 Depth=2
	v_add_co_u32 v17, vcc_lo, v15, 1
	v_add_co_ci_u32_e32 v18, vcc_lo, 0, v16, vcc_lo
	v_add_co_u32 v20, vcc_lo, v52, 8
	v_add_co_ci_u32_e32 v21, vcc_lo, 0, v53, vcc_lo
	s_mov_b32 s12, exec_lo
	s_delay_alu instid0(VALU_DEP_1)
	v_cmpx_lt_u64_e64 v[20:21], v[17:18]
	s_cbranch_execz .LBB0_98
; %bb.85:                               ;   in Loop: Header=BB0_83 Depth=2
	s_sleep 1
	flat_load_b64 v[52:53], v[50:51] glc
	v_cmp_eq_u32_e32 vcc_lo, 0, v135
	s_and_saveexec_b32 s21, vcc_lo
	s_cbranch_execz .LBB0_97
; %bb.86:                               ;   in Loop: Header=BB0_83 Depth=2
	v_cndmask_b32_e64 v16, 0, 1, vcc_lo
	s_mov_b32 s22, 0
                                        ; implicit-def: $sgpr23
	s_branch .LBB0_90
.LBB0_87:                               ;   in Loop: Header=BB0_90 Depth=3
	s_or_b32 exec_lo, exec_lo, s26
	s_delay_alu instid0(SALU_CYCLE_1)
	s_or_not1_b32 s26, s27, exec_lo
.LBB0_88:                               ;   in Loop: Header=BB0_90 Depth=3
	s_or_b32 exec_lo, exec_lo, s25
	s_xor_b32 s25, s26, -1
	s_and_not1_b32 s23, s23, exec_lo
	s_and_b32 s25, s25, exec_lo
	s_delay_alu instid0(SALU_CYCLE_1)
	s_or_b32 s23, s23, s25
.LBB0_89:                               ;   in Loop: Header=BB0_90 Depth=3
	s_or_b32 exec_lo, exec_lo, s24
	s_delay_alu instid0(SALU_CYCLE_1) | instskip(NEXT) | instid1(SALU_CYCLE_1)
	s_and_b32 s24, exec_lo, s23
	s_or_b32 s22, s24, s22
	s_delay_alu instid0(SALU_CYCLE_1)
	s_and_not1_b32 exec_lo, exec_lo, s22
	s_cbranch_execz .LBB0_96
.LBB0_90:                               ;   Parent Loop BB0_32 Depth=1
                                        ;     Parent Loop BB0_83 Depth=2
                                        ; =>    This Inner Loop Header: Depth=3
	s_waitcnt vmcnt(0) lgkmcnt(0)
	v_add_co_u32 v20, vcc_lo, v52, 8
	v_add_co_ci_u32_e32 v21, vcc_lo, 0, v53, vcc_lo
	v_mov_b32_e32 v135, 0
	s_or_b32 s23, s23, exec_lo
	s_mov_b32 s24, exec_lo
	s_delay_alu instid0(VALU_DEP_2)
	v_cmpx_lt_u64_e64 v[20:21], v[17:18]
	s_cbranch_execz .LBB0_89
; %bb.91:                               ;   in Loop: Header=BB0_90 Depth=3
	s_sleep 1
	flat_load_b64 v[52:53], v[50:51] glc
	v_dual_mov_b32 v135, 0 :: v_dual_add_nc_u32 v16, 1, v16
	s_mov_b32 s26, -1
	s_mov_b32 s25, exec_lo
	s_delay_alu instid0(VALU_DEP_1)
	v_cmpx_eq_u32_e32 0x2710, v16
	s_cbranch_execz .LBB0_88
; %bb.92:                               ;   in Loop: Header=BB0_90 Depth=3
	s_cbranch_execnz .LBB0_243
; %bb.93:                               ;   in Loop: Header=BB0_90 Depth=3
	ds_load_b64 v[20:21], v0
	v_dual_mov_b32 v16, 0 :: v_dual_mov_b32 v135, 0
	s_mov_b32 s27, -1
	s_mov_b32 s26, exec_lo
	s_waitcnt vmcnt(0) lgkmcnt(0)
	s_waitcnt_vscnt null, 0x0
	flat_load_b32 v20, v[20:21] glc
	s_waitcnt vmcnt(0) lgkmcnt(0)
	buffer_gl1_inv
	buffer_gl0_inv
	v_cmpx_ne_u32_e32 0, v20
	s_cbranch_execz .LBB0_87
; %bb.94:                               ;   in Loop: Header=BB0_90 Depth=3
	ds_store_b32 v0, v20
	s_cbranch_execnz .LBB0_270
; %bb.95:                               ;   in Loop: Header=BB0_90 Depth=3
	v_mov_b32_e32 v135, 1
	s_xor_b32 s27, exec_lo, -1
	s_branch .LBB0_87
.LBB0_96:                               ;   in Loop: Header=BB0_83 Depth=2
	s_or_b32 exec_lo, exec_lo, s22
.LBB0_97:                               ;   in Loop: Header=BB0_83 Depth=2
	s_delay_alu instid0(SALU_CYCLE_1)
	s_or_b32 exec_lo, exec_lo, s21
.LBB0_98:                               ;   in Loop: Header=BB0_83 Depth=2
	s_delay_alu instid0(SALU_CYCLE_1)
	s_or_b32 exec_lo, exec_lo, s12
	s_and_saveexec_b32 s12, s2
	s_cbranch_execz .LBB0_100
; %bb.99:                               ;   in Loop: Header=BB0_83 Depth=2
	v_dual_mov_b32 v21, v118 :: v_dual_and_b32 v20, 0x7ffffff8, v15
	v_and_b32_e32 v16, 7, v15
	s_delay_alu instid0(VALU_DEP_2) | instskip(NEXT) | instid1(VALU_DEP_2)
	v_cmp_eq_u64_e32 vcc_lo, 0x7ffffff8, v[20:21]
	v_mad_u64_u32 v[20:21], null, v16, 24, v[13:14]
	v_cndmask_b32_e64 v15, v145, s15, vcc_lo
	s_delay_alu instid0(VALU_DEP_1)
	v_ashrrev_i32_e32 v16, 31, v15
	flat_store_b64 v[20:21], v[15:16] offset:8 dlc
	s_waitcnt_vscnt null, 0x0
.LBB0_100:                              ;   in Loop: Header=BB0_83 Depth=2
	s_or_b32 exec_lo, exec_lo, s12
	v_dual_mov_b32 v15, v17 :: v_dual_mov_b32 v16, v18
.LBB0_101:                              ;   in Loop: Header=BB0_83 Depth=2
	s_or_b32 exec_lo, exec_lo, s11
	s_and_saveexec_b32 s11, s3
	s_cbranch_execz .LBB0_123
; %bb.102:                              ;   in Loop: Header=BB0_83 Depth=2
	s_and_saveexec_b32 s12, s4
	s_delay_alu instid0(SALU_CYCLE_1)
	s_xor_b32 s12, exec_lo, s12
	s_cbranch_execz .LBB0_120
; %bb.103:                              ;   in Loop: Header=BB0_83 Depth=2
	s_and_saveexec_b32 s21, s5
	s_cbranch_execz .LBB0_119
; %bb.104:                              ;   in Loop: Header=BB0_83 Depth=2
	s_mov_b32 s23, exec_lo
	s_mov_b32 s22, exec_lo
	v_mbcnt_lo_u32_b32 v17, s23, 0
	s_waitcnt vmcnt(0) lgkmcnt(0)
	s_waitcnt_vscnt null, 0x0
	buffer_gl1_inv
	buffer_gl0_inv
	v_cmpx_eq_u32_e32 0, v17
	s_cbranch_execz .LBB0_106
; %bb.105:                              ;   in Loop: Header=BB0_83 Depth=2
	s_bcnt1_i32_b32 s23, s23
	s_delay_alu instid0(SALU_CYCLE_1)
	v_dual_mov_b32 v18, v118 :: v_dual_mov_b32 v17, s23
	ds_add_u64 v0, v[17:18]
	s_cbranch_execnz .LBB0_268
.LBB0_106:                              ;   in Loop: Header=BB0_83 Depth=2
	s_or_b32 exec_lo, exec_lo, s22
	s_cbranch_execnz .LBB0_262
; %bb.107:                              ;   in Loop: Header=BB0_83 Depth=2
	ds_load_b64 v[17:18], v0
	v_add_co_u32 v2, vcc_lo, v2, v119
	v_add_co_ci_u32_e32 v3, vcc_lo, v3, v69, vcc_lo
	s_mov_b32 s22, exec_lo
	s_waitcnt lgkmcnt(0)
	s_delay_alu instid0(VALU_DEP_1)
	v_cmpx_lt_u64_e64 v[17:18], v[2:3]
	s_cbranch_execz .LBB0_118
; %bb.108:                              ;   in Loop: Header=BB0_83 Depth=2
	s_mov_b32 s23, 0
	s_mov_b32 s26, 0
                                        ; implicit-def: $sgpr24
                                        ; implicit-def: $sgpr25
	s_branch .LBB0_110
.LBB0_109:                              ;   in Loop: Header=BB0_110 Depth=3
	s_or_b32 exec_lo, exec_lo, s29
	s_delay_alu instid0(SALU_CYCLE_1) | instskip(NEXT) | instid1(SALU_CYCLE_1)
	s_and_b32 s27, exec_lo, s28
	s_or_b32 s23, s27, s23
	s_and_not1_b32 s24, s24, exec_lo
	s_and_b32 s27, s25, exec_lo
	s_delay_alu instid0(SALU_CYCLE_1)
	s_or_b32 s24, s24, s27
	s_and_not1_b32 exec_lo, exec_lo, s23
	s_cbranch_execz .LBB0_116
.LBB0_110:                              ;   Parent Loop BB0_32 Depth=1
                                        ;     Parent Loop BB0_83 Depth=2
                                        ; =>    This Inner Loop Header: Depth=3
	s_add_i32 s26, s26, 1
                                        ; implicit-def: $sgpr28
	s_delay_alu instid0(SALU_CYCLE_1) | instskip(SKIP_1) | instid1(SALU_CYCLE_1)
	s_cmpk_lg_i32 s26, 0x2710
	s_cselect_b32 s27, -1, 0
	s_and_b32 vcc_lo, exec_lo, s27
	s_cbranch_vccz .LBB0_114
.LBB0_111:                              ;   in Loop: Header=BB0_110 Depth=3
	s_and_not1_b32 s25, s25, exec_lo
	s_and_b32 s29, s28, exec_lo
	s_mov_b32 s28, -1
	s_or_b32 s25, s25, s29
	s_and_saveexec_b32 s29, s27
	s_cbranch_execz .LBB0_109
; %bb.112:                              ;   in Loop: Header=BB0_110 Depth=3
	s_sleep 1
	s_cbranch_execnz .LBB0_286
; %bb.113:                              ;   in Loop: Header=BB0_110 Depth=3
	ds_load_b64 v[17:18], v0
	s_and_not1_b32 s25, s25, exec_lo
	s_waitcnt lgkmcnt(0)
	v_cmp_ge_u64_e32 vcc_lo, v[17:18], v[2:3]
	s_or_not1_b32 s28, vcc_lo, exec_lo
	s_branch .LBB0_109
.LBB0_114:                              ;   in Loop: Header=BB0_110 Depth=3
	s_cbranch_execnz .LBB0_290
; %bb.115:                              ;   in Loop: Header=BB0_110 Depth=3
	ds_load_b64 v[17:18], v0
	s_and_not1_b32 s27, s27, exec_lo
	s_mov_b32 s26, 0
	s_mov_b32 s28, -1
	s_waitcnt lgkmcnt(0)
	flat_load_b32 v17, v[17:18] glc
	s_waitcnt vmcnt(0) lgkmcnt(0)
	buffer_gl1_inv
	buffer_gl0_inv
	v_cmp_eq_u32_e32 vcc_lo, 0, v17
	s_and_b32 s29, vcc_lo, exec_lo
	s_delay_alu instid0(SALU_CYCLE_1)
	s_or_b32 s27, s27, s29
	s_branch .LBB0_111
.LBB0_116:                              ;   in Loop: Header=BB0_83 Depth=2
	s_or_b32 exec_lo, exec_lo, s23
	s_and_saveexec_b32 s23, s24
	s_delay_alu instid0(SALU_CYCLE_1)
	s_xor_b32 s23, exec_lo, s23
	s_cbranch_execz .LBB0_118
; %bb.117:                              ;   in Loop: Header=BB0_83 Depth=2
	ds_store_b32 v0, v71
	s_cbranch_execnz .LBB0_311
.LBB0_118:                              ;   in Loop: Header=BB0_83 Depth=2
	s_or_b32 exec_lo, exec_lo, s22
	;;#ASMSTART
	s_wakeup
	;;#ASMEND
.LBB0_119:                              ;   in Loop: Header=BB0_83 Depth=2
	s_or_b32 exec_lo, exec_lo, s21
.LBB0_120:                              ;   in Loop: Header=BB0_83 Depth=2
	s_and_not1_saveexec_b32 s12, s12
	s_cbranch_execz .LBB0_122
; %bb.121:                              ;   in Loop: Header=BB0_83 Depth=2
	s_waitcnt vmcnt(0) lgkmcnt(0)
	s_waitcnt_vscnt null, 0x0
	buffer_gl1_inv
	buffer_gl0_inv
	s_barrier
.LBB0_122:                              ;   in Loop: Header=BB0_83 Depth=2
	s_or_b32 exec_lo, exec_lo, s12
.LBB0_123:                              ;   in Loop: Header=BB0_83 Depth=2
	s_delay_alu instid0(SALU_CYCLE_1)
	s_or_b32 exec_lo, exec_lo, s11
	v_mov_b32_e32 v100, v4
	s_and_saveexec_b32 s21, s10
	s_cbranch_execz .LBB0_143
; %bb.124:                              ;   in Loop: Header=BB0_83 Depth=2
	s_waitcnt vmcnt(0) lgkmcnt(0)
	v_ashrrev_i32_e32 v20, 31, v19
	v_mul_lo_u32 v22, v65, v19
	v_mad_u64_u32 v[17:18], null, v64, v19, 0
	v_dual_mov_b32 v100, v98 :: v_dual_and_b32 v19, 7, v32
	s_delay_alu instid0(VALU_DEP_4) | instskip(SKIP_2) | instid1(VALU_DEP_4)
	v_mul_lo_u32 v20, v64, v20
	v_and_b32_e32 v21, 7, v98
	v_add_nc_u32_e32 v149, 1, v32
	v_mul_lo_u32 v19, v19, s17
	v_mov_b32_e32 v163, v144
	s_mov_b32 s22, 0
	v_mul_lo_u32 v21, v21, s17
                                        ; implicit-def: $vgpr112_vgpr113
	v_add3_u32 v18, v18, v20, v22
	s_delay_alu instid0(VALU_DEP_4) | instskip(NEXT) | instid1(VALU_DEP_2)
	v_ashrrev_i32_e32 v20, 31, v19
	v_lshlrev_b64 v[17:18], 2, v[17:18]
	s_delay_alu instid0(VALU_DEP_4) | instskip(NEXT) | instid1(VALU_DEP_3)
	v_ashrrev_i32_e32 v22, 31, v21
	v_lshlrev_b64 v[19:20], 4, v[19:20]
	s_delay_alu instid0(VALU_DEP_2) | instskip(NEXT) | instid1(VALU_DEP_4)
	v_lshlrev_b64 v[21:22], 4, v[21:22]
	v_add_co_u32 v102, vcc_lo, v146, v17
	v_add_co_ci_u32_e32 v103, vcc_lo, v147, v18, vcc_lo
	s_delay_alu instid0(VALU_DEP_4)
	v_add_co_u32 v150, vcc_lo, v29, v19
	v_add_co_ci_u32_e32 v151, vcc_lo, v30, v20, vcc_lo
	v_add_co_u32 v160, vcc_lo, v38, v21
	v_add_co_ci_u32_e32 v161, vcc_lo, v39, v22, vcc_lo
	;; [unrolled: 2-line block ×3, first 2 shown]
	v_mov_b32_e32 v100, v4
	s_branch .LBB0_128
.LBB0_125:                              ;   in Loop: Header=BB0_128 Depth=3
	s_or_b32 exec_lo, exec_lo, s24
	s_xor_b32 s11, s25, -1
	s_delay_alu instid0(SALU_CYCLE_1) | instskip(NEXT) | instid1(SALU_CYCLE_1)
	s_and_saveexec_b32 s24, s11
	s_xor_b32 s11, exec_lo, s24
	s_delay_alu instid0(SALU_CYCLE_1) | instskip(NEXT) | instid1(SALU_CYCLE_1)
	s_and_not1_saveexec_b32 s11, s11
	s_or_b32 exec_lo, exec_lo, s11
.LBB0_126:                              ;   in Loop: Header=BB0_128 Depth=3
	s_delay_alu instid0(SALU_CYCLE_1)
	s_or_b32 exec_lo, exec_lo, s12
.LBB0_127:                              ;   in Loop: Header=BB0_128 Depth=3
	s_delay_alu instid0(SALU_CYCLE_1)
	s_or_b32 exec_lo, exec_lo, s23
	s_waitcnt vmcnt(0) lgkmcnt(0)
	v_max_f32_e32 v17, v17, v17
	v_dual_max_f32 v19, v19, v19 :: v_dual_max_f32 v20, v113, v113
	v_max_f32_e32 v21, v21, v21
	v_add_co_u32 v102, vcc_lo, v102, v86
	s_delay_alu instid0(VALU_DEP_3) | instskip(SKIP_1) | instid1(VALU_DEP_4)
	v_min_f32_e32 v22, v19, v17
	v_max_f32_e32 v17, v19, v17
	v_min_f32_e32 v19, v21, v20
	v_max_f32_e32 v20, v21, v20
	v_sub_nc_u32_e32 v163, v163, v70
	v_add_co_ci_u32_e32 v103, vcc_lo, v103, v87, vcc_lo
	v_cndmask_b32_e64 v17, v22, v17, s6
	s_delay_alu instid0(VALU_DEP_4)
	v_cndmask_b32_e64 v19, v19, v20, s6
	v_add_co_u32 v21, vcc_lo, v160, v114
	v_add_co_ci_u32_e32 v22, vcc_lo, v161, v115, vcc_lo
	v_cmp_gt_i32_e32 vcc_lo, 1, v163
	v_or_b32_e32 v17, v162, v17
	v_or_b32_e32 v19, v162, v19
	v_mov_b32_e32 v20, v18
	v_add_nc_u32_e32 v100, v100, v1
	s_or_b32 s22, vcc_lo, s22
	global_store_b128 v[21:22], v[17:20], off
	s_and_not1_b32 exec_lo, exec_lo, s22
	s_cbranch_execz .LBB0_142
.LBB0_128:                              ;   Parent Loop BB0_32 Depth=1
                                        ;     Parent Loop BB0_83 Depth=2
                                        ; =>    This Loop Header: Depth=3
                                        ;         Child Loop BB0_134 Depth 4
	flat_load_b32 v17, v[102:103] glc
	s_mov_b32 s11, exec_lo
	v_cmpx_ne_u32_e32 1, v163
	s_cbranch_execz .LBB0_130
; %bb.129:                              ;   in Loop: Header=BB0_128 Depth=3
	flat_load_b32 v113, v[102:103] offset:4 glc
.LBB0_130:                              ;   in Loop: Header=BB0_128 Depth=3
	s_or_b32 exec_lo, exec_lo, s11
	v_ashrrev_i32_e32 v101, 31, v100
	s_delay_alu instid0(VALU_DEP_1) | instskip(NEXT) | instid1(VALU_DEP_1)
	v_lshlrev_b64 v[114:115], 4, v[100:101]
	v_add_co_u32 v116, vcc_lo, v150, v114
	s_delay_alu instid0(VALU_DEP_2)
	v_add_co_ci_u32_e32 v117, vcc_lo, v151, v115, vcc_lo
	v_cmp_eq_u32_e32 vcc_lo, 0, v135
	;;#ASMSTART
	global_load_b128 v[19:22], v[116:117], off glc slc dlc
s_waitcnt vmcnt(0)

	;;#ASMEND
	s_and_saveexec_b32 s23, vcc_lo
	s_cbranch_execz .LBB0_127
; %bb.131:                              ;   in Loop: Header=BB0_128 Depth=3
	v_cmp_ne_u32_e64 s11, v149, v20
	v_cmp_ne_u32_e64 s12, v149, v22
	v_mov_b32_e32 v135, 0
	s_delay_alu instid0(VALU_DEP_2) | instskip(NEXT) | instid1(SALU_CYCLE_1)
	s_or_b32 s11, s11, s12
	s_and_saveexec_b32 s12, s11
	s_cbranch_execz .LBB0_126
; %bb.132:                              ;   in Loop: Header=BB0_128 Depth=3
	v_cndmask_b32_e64 v101, 0, 1, vcc_lo
	s_mov_b32 s24, 0
                                        ; implicit-def: $sgpr25
                                        ; implicit-def: $sgpr26
	s_branch .LBB0_134
.LBB0_133:                              ;   in Loop: Header=BB0_134 Depth=4
	s_or_b32 exec_lo, exec_lo, s27
	s_delay_alu instid0(SALU_CYCLE_1) | instskip(NEXT) | instid1(SALU_CYCLE_1)
	s_and_b32 s11, exec_lo, s11
	s_or_b32 s24, s11, s24
	s_and_not1_b32 s11, s25, exec_lo
	s_and_b32 s25, s26, exec_lo
	s_delay_alu instid0(SALU_CYCLE_1)
	s_or_b32 s25, s11, s25
	s_and_not1_b32 exec_lo, exec_lo, s24
	s_cbranch_execz .LBB0_125
.LBB0_134:                              ;   Parent Loop BB0_32 Depth=1
                                        ;     Parent Loop BB0_83 Depth=2
                                        ;       Parent Loop BB0_128 Depth=3
                                        ; =>      This Inner Loop Header: Depth=4
	s_delay_alu instid0(VALU_DEP_1)
	v_add_nc_u32_e32 v101, 1, v101
	v_mov_b32_e32 v135, 0
	s_mov_b32 s11, -1
	s_mov_b32 s28, -1
	s_mov_b32 s27, exec_lo
	;;#ASMSTART
	global_load_b128 v[19:22], v[116:117], off glc slc dlc
s_waitcnt vmcnt(0)

	;;#ASMEND
	v_cmpx_eq_u32_e32 0x2710, v101
	s_cbranch_execz .LBB0_140
; %bb.135:                              ;   in Loop: Header=BB0_134 Depth=4
	s_cbranch_execnz .LBB0_237
; %bb.136:                              ;   in Loop: Header=BB0_134 Depth=4
	ds_load_b64 v[164:165], v0
	v_mov_b32_e32 v101, 0
	v_mov_b32_e32 v135, 0
	s_mov_b32 s29, -1
	s_mov_b32 s28, exec_lo
	s_waitcnt vmcnt(0) lgkmcnt(0)
	s_waitcnt_vscnt null, 0x0
	flat_load_b32 v112, v[164:165] glc
	s_waitcnt vmcnt(0) lgkmcnt(0)
	buffer_gl1_inv
	buffer_gl0_inv
	v_cmpx_ne_u32_e32 0, v112
	s_cbranch_execz .LBB0_139
; %bb.137:                              ;   in Loop: Header=BB0_134 Depth=4
	ds_store_b32 v0, v112
	s_cbranch_execnz .LBB0_245
; %bb.138:                              ;   in Loop: Header=BB0_134 Depth=4
	v_mov_b32_e32 v135, 1
	s_xor_b32 s29, exec_lo, -1
.LBB0_139:                              ;   in Loop: Header=BB0_134 Depth=4
	s_or_b32 exec_lo, exec_lo, s28
	s_delay_alu instid0(SALU_CYCLE_1)
	s_or_not1_b32 s28, s29, exec_lo
.LBB0_140:                              ;   in Loop: Header=BB0_134 Depth=4
	s_or_b32 exec_lo, exec_lo, s27
	s_delay_alu instid0(SALU_CYCLE_1)
	s_or_b32 s26, s26, exec_lo
	s_and_saveexec_b32 s27, s28
	s_cbranch_execz .LBB0_133
; %bb.141:                              ;   in Loop: Header=BB0_134 Depth=4
	v_cmp_eq_u32_e32 vcc_lo, v149, v20
	v_cmp_eq_u32_e64 s11, v149, v22
	s_and_not1_b32 s26, s26, exec_lo
	s_delay_alu instid0(VALU_DEP_1) | instskip(NEXT) | instid1(SALU_CYCLE_1)
	s_and_b32 s11, vcc_lo, s11
	s_or_not1_b32 s11, s11, exec_lo
	s_branch .LBB0_133
.LBB0_142:                              ;   in Loop: Header=BB0_83 Depth=2
	s_or_b32 exec_lo, exec_lo, s22
.LBB0_143:                              ;   in Loop: Header=BB0_83 Depth=2
	s_delay_alu instid0(SALU_CYCLE_1)
	s_or_b32 exec_lo, exec_lo, s21
	s_and_saveexec_b32 s11, s3
	s_cbranch_execz .LBB0_165
; %bb.144:                              ;   in Loop: Header=BB0_83 Depth=2
	s_and_saveexec_b32 s12, s4
	s_delay_alu instid0(SALU_CYCLE_1)
	s_xor_b32 s12, exec_lo, s12
	s_cbranch_execz .LBB0_162
; %bb.145:                              ;   in Loop: Header=BB0_83 Depth=2
	s_and_saveexec_b32 s21, s5
	s_cbranch_execz .LBB0_161
; %bb.146:                              ;   in Loop: Header=BB0_83 Depth=2
	s_mov_b32 s23, exec_lo
	s_mov_b32 s22, exec_lo
	v_mbcnt_lo_u32_b32 v17, s23, 0
	s_waitcnt vmcnt(0) lgkmcnt(0)
	s_waitcnt_vscnt null, 0x0
	buffer_gl1_inv
	buffer_gl0_inv
	v_cmpx_eq_u32_e32 0, v17
	s_cbranch_execz .LBB0_148
; %bb.147:                              ;   in Loop: Header=BB0_83 Depth=2
	s_bcnt1_i32_b32 s23, s23
	s_delay_alu instid0(SALU_CYCLE_1)
	v_dual_mov_b32 v18, v118 :: v_dual_mov_b32 v17, s23
	ds_add_u64 v0, v[17:18]
	s_cbranch_execnz .LBB0_280
.LBB0_148:                              ;   in Loop: Header=BB0_83 Depth=2
	s_or_b32 exec_lo, exec_lo, s22
	s_cbranch_execnz .LBB0_272
; %bb.149:                              ;   in Loop: Header=BB0_83 Depth=2
	ds_load_b64 v[17:18], v0
	v_add_co_u32 v2, vcc_lo, v2, v119
	v_add_co_ci_u32_e32 v3, vcc_lo, v3, v69, vcc_lo
	s_mov_b32 s22, exec_lo
	s_waitcnt lgkmcnt(0)
	s_delay_alu instid0(VALU_DEP_1)
	v_cmpx_lt_u64_e64 v[17:18], v[2:3]
	s_cbranch_execz .LBB0_160
; %bb.150:                              ;   in Loop: Header=BB0_83 Depth=2
	s_mov_b32 s23, 0
	s_mov_b32 s26, 0
                                        ; implicit-def: $sgpr24
                                        ; implicit-def: $sgpr25
	s_branch .LBB0_152
.LBB0_151:                              ;   in Loop: Header=BB0_152 Depth=3
	s_or_b32 exec_lo, exec_lo, s29
	s_delay_alu instid0(SALU_CYCLE_1) | instskip(NEXT) | instid1(SALU_CYCLE_1)
	s_and_b32 s27, exec_lo, s28
	s_or_b32 s23, s27, s23
	s_and_not1_b32 s24, s24, exec_lo
	s_and_b32 s27, s25, exec_lo
	s_delay_alu instid0(SALU_CYCLE_1)
	s_or_b32 s24, s24, s27
	s_and_not1_b32 exec_lo, exec_lo, s23
	s_cbranch_execz .LBB0_158
.LBB0_152:                              ;   Parent Loop BB0_32 Depth=1
                                        ;     Parent Loop BB0_83 Depth=2
                                        ; =>    This Inner Loop Header: Depth=3
	s_add_i32 s26, s26, 1
                                        ; implicit-def: $sgpr28
	s_delay_alu instid0(SALU_CYCLE_1) | instskip(SKIP_1) | instid1(SALU_CYCLE_1)
	s_cmpk_lg_i32 s26, 0x2710
	s_cselect_b32 s27, -1, 0
	s_and_b32 vcc_lo, exec_lo, s27
	s_cbranch_vccz .LBB0_156
.LBB0_153:                              ;   in Loop: Header=BB0_152 Depth=3
	s_and_not1_b32 s25, s25, exec_lo
	s_and_b32 s29, s28, exec_lo
	s_mov_b32 s28, -1
	s_or_b32 s25, s25, s29
	s_and_saveexec_b32 s29, s27
	s_cbranch_execz .LBB0_151
; %bb.154:                              ;   in Loop: Header=BB0_152 Depth=3
	s_sleep 1
	s_cbranch_execnz .LBB0_292
; %bb.155:                              ;   in Loop: Header=BB0_152 Depth=3
	ds_load_b64 v[17:18], v0
	s_and_not1_b32 s25, s25, exec_lo
	s_waitcnt lgkmcnt(0)
	v_cmp_ge_u64_e32 vcc_lo, v[17:18], v[2:3]
	s_or_not1_b32 s28, vcc_lo, exec_lo
	s_branch .LBB0_151
.LBB0_156:                              ;   in Loop: Header=BB0_152 Depth=3
	s_cbranch_execnz .LBB0_294
; %bb.157:                              ;   in Loop: Header=BB0_152 Depth=3
	ds_load_b64 v[17:18], v0
	s_and_not1_b32 s27, s27, exec_lo
	s_mov_b32 s26, 0
	s_mov_b32 s28, -1
	s_waitcnt lgkmcnt(0)
	flat_load_b32 v17, v[17:18] glc
	s_waitcnt vmcnt(0) lgkmcnt(0)
	buffer_gl1_inv
	buffer_gl0_inv
	v_cmp_eq_u32_e32 vcc_lo, 0, v17
	s_and_b32 s29, vcc_lo, exec_lo
	s_delay_alu instid0(SALU_CYCLE_1)
	s_or_b32 s27, s27, s29
	s_branch .LBB0_153
.LBB0_158:                              ;   in Loop: Header=BB0_83 Depth=2
	s_or_b32 exec_lo, exec_lo, s23
	s_and_saveexec_b32 s23, s24
	s_delay_alu instid0(SALU_CYCLE_1)
	s_xor_b32 s23, exec_lo, s23
	s_cbranch_execz .LBB0_160
; %bb.159:                              ;   in Loop: Header=BB0_83 Depth=2
	ds_store_b32 v0, v71
	s_cbranch_execnz .LBB0_313
.LBB0_160:                              ;   in Loop: Header=BB0_83 Depth=2
	s_or_b32 exec_lo, exec_lo, s22
	;;#ASMSTART
	s_wakeup
	;;#ASMEND
.LBB0_161:                              ;   in Loop: Header=BB0_83 Depth=2
	s_or_b32 exec_lo, exec_lo, s21
.LBB0_162:                              ;   in Loop: Header=BB0_83 Depth=2
	s_and_not1_saveexec_b32 s12, s12
	s_cbranch_execz .LBB0_164
; %bb.163:                              ;   in Loop: Header=BB0_83 Depth=2
	s_waitcnt vmcnt(0) lgkmcnt(0)
	s_waitcnt_vscnt null, 0x0
	buffer_gl1_inv
	buffer_gl0_inv
	s_barrier
.LBB0_164:                              ;   in Loop: Header=BB0_83 Depth=2
	s_or_b32 exec_lo, exec_lo, s12
.LBB0_165:                              ;   in Loop: Header=BB0_83 Depth=2
	s_delay_alu instid0(SALU_CYCLE_1)
	s_or_b32 exec_lo, exec_lo, s11
	s_and_saveexec_b32 s11, s7
	s_cbranch_execz .LBB0_167
; %bb.166:                              ;   in Loop: Header=BB0_83 Depth=2
	v_add_co_u32 v48, vcc_lo, v48, 1
	v_add_co_ci_u32_e32 v49, vcc_lo, 0, v49, vcc_lo
	s_waitcnt vmcnt(0) lgkmcnt(0)
	s_waitcnt_vscnt null, 0x0
	flat_store_b64 v[36:37], v[48:49]
.LBB0_167:                              ;   in Loop: Header=BB0_83 Depth=2
	s_or_b32 exec_lo, exec_lo, s11
	v_dual_mov_b32 v18, v118 :: v_dual_and_b32 v17, 0x7ffffff8, v98
	v_cmp_gt_i32_e64 s11, s17, v100
	s_delay_alu instid0(VALU_DEP_2) | instskip(NEXT) | instid1(VALU_DEP_2)
	v_cmp_eq_u64_e32 vcc_lo, 0x7ffffff8, v[17:18]
	s_and_b32 s11, vcc_lo, s11
	s_delay_alu instid0(SALU_CYCLE_1)
	s_and_saveexec_b32 s12, s11
	s_cbranch_execz .LBB0_170
; %bb.168:                              ;   in Loop: Header=BB0_83 Depth=2
	v_and_b32_e32 v17, 7, v148
	v_ashrrev_i32_e32 v101, 31, v100
	v_mov_b32_e32 v21, v98
	s_mov_b32 s21, 0
	s_delay_alu instid0(VALU_DEP_3) | instskip(SKIP_2) | instid1(VALU_DEP_2)
	v_mul_lo_u32 v17, s17, v17
	s_waitcnt vmcnt(0) lgkmcnt(0)
	v_lshlrev_b64 v[19:20], 4, v[100:101]
	v_ashrrev_i32_e32 v18, 31, v17
	s_delay_alu instid0(VALU_DEP_1) | instskip(NEXT) | instid1(VALU_DEP_1)
	v_lshlrev_b64 v[17:18], 4, v[17:18]
	v_add_co_u32 v19, vcc_lo, v19, v17
	s_delay_alu instid0(VALU_DEP_2) | instskip(SKIP_2) | instid1(VALU_DEP_4)
	v_add_co_ci_u32_e32 v20, vcc_lo, v20, v18, vcc_lo
	v_add_co_u32 v17, vcc_lo, 0, 0
	v_add_co_ci_u32_e32 v18, vcc_lo, 1, v21, vcc_lo
	v_add_co_u32 v21, vcc_lo, v38, v19
	s_delay_alu instid0(VALU_DEP_4)
	v_add_co_ci_u32_e32 v22, vcc_lo, v39, v20, vcc_lo
.LBB0_169:                              ;   Parent Loop BB0_32 Depth=1
                                        ;     Parent Loop BB0_83 Depth=2
                                        ; =>    This Inner Loop Header: Depth=3
	s_delay_alu instid0(VALU_DEP_4) | instskip(NEXT) | instid1(VALU_DEP_4)
	v_dual_mov_b32 v19, v17 :: v_dual_add_nc_u32 v100, v100, v1
	v_mov_b32_e32 v20, v18
	s_delay_alu instid0(VALU_DEP_2) | instskip(SKIP_2) | instid1(VALU_DEP_1)
	v_cmp_le_i32_e32 vcc_lo, s17, v100
	global_store_b128 v[21:22], v[17:20], off
	v_add_co_u32 v21, s11, v21, v5
	v_add_co_ci_u32_e64 v22, s11, v22, v6, s11
	s_or_b32 s21, vcc_lo, s21
	s_delay_alu instid0(SALU_CYCLE_1)
	s_and_not1_b32 exec_lo, exec_lo, s21
	s_cbranch_execnz .LBB0_169
.LBB0_170:                              ;   in Loop: Header=BB0_83 Depth=2
	s_or_b32 exec_lo, exec_lo, s12
	v_add_co_u32 v32, vcc_lo, v32, 1
	v_add_co_ci_u32_e32 v33, vcc_lo, 0, v33, vcc_lo
	v_add_co_u32 v98, vcc_lo, v98, 1
	v_add_co_ci_u32_e32 v99, vcc_lo, 0, v99, vcc_lo
	v_add_nc_u16 v148, v148, 1
	s_add_i32 s20, s20, 1
	s_delay_alu instid0(SALU_CYCLE_1)
	s_cmp_eq_u32 s20, s14
	s_cbranch_scc0 .LBB0_83
.LBB0_171:                              ;   in Loop: Header=BB0_32 Depth=1
	s_delay_alu instid0(VALU_DEP_1)
	v_dual_mov_b32 v21, v98 :: v_dual_mov_b32 v22, v99
	s_and_saveexec_b32 s20, s10
	s_cbranch_execz .LBB0_197
; %bb.172:                              ;   in Loop: Header=BB0_32 Depth=1
	s_waitcnt vmcnt(0) lgkmcnt(0)
	flat_load_b32 v19, v[23:24]
	v_and_b32_e32 v98, 7, v32
	v_add_nc_u32_e32 v103, 1, v32
	s_mov_b32 s21, 0
	s_delay_alu instid0(VALU_DEP_2) | instskip(SKIP_4) | instid1(VALU_DEP_3)
	v_mul_lo_u32 v98, v98, s17
	s_waitcnt vmcnt(0) lgkmcnt(0)
	v_ashrrev_i32_e32 v20, 31, v19
	v_mul_lo_u32 v99, v65, v19
	v_mad_u64_u32 v[17:18], null, v64, v19, 0
	v_mul_lo_u32 v100, v64, v20
	v_lshlrev_b64 v[19:20], 2, v[96:97]
	s_delay_alu instid0(VALU_DEP_2) | instskip(NEXT) | instid1(VALU_DEP_2)
	v_add3_u32 v18, v18, v100, v99
	v_add_co_u32 v100, vcc_lo, v11, v19
	v_ashrrev_i32_e32 v99, 31, v98
	s_delay_alu instid0(VALU_DEP_4) | instskip(NEXT) | instid1(VALU_DEP_4)
	v_add_co_ci_u32_e32 v101, vcc_lo, v12, v20, vcc_lo
	v_lshlrev_b64 v[17:18], 2, v[17:18]
	v_add_co_u32 v96, vcc_lo, v130, v19
	v_add_co_ci_u32_e32 v97, vcc_lo, v131, v20, vcc_lo
	v_lshlrev_b64 v[19:20], 4, v[98:99]
	s_delay_alu instid0(VALU_DEP_4) | instskip(SKIP_2) | instid1(VALU_DEP_4)
	v_add_co_u32 v17, vcc_lo, v100, v17
	v_mov_b32_e32 v100, v4
	v_add_co_ci_u32_e32 v18, vcc_lo, v101, v18, vcc_lo
	v_add_co_u32 v114, vcc_lo, v29, v19
	v_add_co_ci_u32_e32 v115, vcc_lo, v30, v20, vcc_lo
	v_add_co_u32 v98, vcc_lo, v17, v80
	s_delay_alu instid0(VALU_DEP_4)
	v_add_co_ci_u32_e32 v99, vcc_lo, v18, v81, vcc_lo
                                        ; implicit-def: $vgpr101_vgpr102
	s_branch .LBB0_174
.LBB0_173:                              ;   in Loop: Header=BB0_174 Depth=2
	v_sub_nc_u32_e32 v144, v144, v70
	v_add_co_u32 v98, vcc_lo, v98, v86
	v_add_co_ci_u32_e32 v99, vcc_lo, v99, v87, vcc_lo
	s_delay_alu instid0(VALU_DEP_3) | instskip(SKIP_1) | instid1(VALU_DEP_1)
	v_cmp_gt_i32_e32 vcc_lo, 1, v144
	v_add_co_u32 v96, s10, v96, v86
	v_add_co_ci_u32_e64 v97, s10, v97, v87, s10
	v_add_nc_u32_e32 v100, v100, v1
	s_or_b32 s21, vcc_lo, s21
	s_delay_alu instid0(SALU_CYCLE_1)
	s_and_not1_b32 exec_lo, exec_lo, s21
	s_cbranch_execz .LBB0_196
.LBB0_174:                              ;   Parent Loop BB0_32 Depth=1
                                        ; =>  This Loop Header: Depth=2
                                        ;       Child Loop BB0_180 Depth 3
	flat_load_b32 v116, v[98:99] glc
	v_cmp_ne_u32_e32 vcc_lo, 1, v144
	s_and_saveexec_b32 s10, vcc_lo
	s_cbranch_execz .LBB0_176
; %bb.175:                              ;   in Loop: Header=BB0_174 Depth=2
	flat_load_b32 v102, v[98:99] offset:4 glc
.LBB0_176:                              ;   in Loop: Header=BB0_174 Depth=2
	s_or_b32 exec_lo, exec_lo, s10
	v_ashrrev_i32_e32 v101, 31, v100
	s_delay_alu instid0(VALU_DEP_1) | instskip(NEXT) | instid1(VALU_DEP_1)
	v_lshlrev_b64 v[17:18], 4, v[100:101]
	v_add_co_u32 v112, s10, v114, v17
	s_delay_alu instid0(VALU_DEP_1) | instskip(SKIP_2) | instid1(VALU_DEP_1)
	v_add_co_ci_u32_e64 v113, s10, v115, v18, s10
	v_cmp_eq_u32_e64 s10, 0, v135
	;;#ASMSTART
	global_load_b128 v[17:20], v[112:113], off glc slc dlc
s_waitcnt vmcnt(0)

	;;#ASMEND
	s_and_saveexec_b32 s22, s10
	s_cbranch_execz .LBB0_190
; %bb.177:                              ;   in Loop: Header=BB0_174 Depth=2
	v_cmp_ne_u32_e64 s11, v103, v18
	v_cmp_ne_u32_e64 s12, v103, v20
	v_mov_b32_e32 v135, 0
	s_delay_alu instid0(VALU_DEP_2) | instskip(NEXT) | instid1(SALU_CYCLE_1)
	s_or_b32 s11, s11, s12
	s_and_saveexec_b32 s12, s11
	s_cbranch_execz .LBB0_189
; %bb.178:                              ;   in Loop: Header=BB0_174 Depth=2
	v_cndmask_b32_e64 v101, 0, 1, s10
	s_mov_b32 s23, 0
                                        ; implicit-def: $sgpr24
                                        ; implicit-def: $sgpr25
	s_branch .LBB0_180
.LBB0_179:                              ;   in Loop: Header=BB0_180 Depth=3
	s_or_b32 exec_lo, exec_lo, s26
	s_delay_alu instid0(SALU_CYCLE_1) | instskip(NEXT) | instid1(SALU_CYCLE_1)
	s_and_b32 s10, exec_lo, s11
	s_or_b32 s23, s10, s23
	s_and_not1_b32 s10, s24, exec_lo
	s_and_b32 s11, s25, exec_lo
	s_delay_alu instid0(SALU_CYCLE_1)
	s_or_b32 s24, s10, s11
	s_and_not1_b32 exec_lo, exec_lo, s23
	s_cbranch_execz .LBB0_188
.LBB0_180:                              ;   Parent Loop BB0_32 Depth=1
                                        ;     Parent Loop BB0_174 Depth=2
                                        ; =>    This Inner Loop Header: Depth=3
	s_delay_alu instid0(VALU_DEP_1)
	v_add_nc_u32_e32 v101, 1, v101
	v_mov_b32_e32 v135, 0
	s_mov_b32 s11, -1
	s_mov_b32 s27, -1
	s_mov_b32 s26, exec_lo
	;;#ASMSTART
	global_load_b128 v[17:20], v[112:113], off glc slc dlc
s_waitcnt vmcnt(0)

	;;#ASMEND
	v_cmpx_eq_u32_e32 0x2710, v101
	s_cbranch_execz .LBB0_186
; %bb.181:                              ;   in Loop: Header=BB0_180 Depth=3
	s_cbranch_execnz .LBB0_239
; %bb.182:                              ;   in Loop: Header=BB0_180 Depth=3
	ds_load_b64 v[145:146], v0
	v_mov_b32_e32 v101, 0
	v_mov_b32_e32 v135, 0
	s_mov_b32 s28, -1
	s_mov_b32 s27, exec_lo
	s_waitcnt vmcnt(0) lgkmcnt(0)
	s_waitcnt_vscnt null, 0x0
	flat_load_b32 v117, v[145:146] glc
	s_waitcnt vmcnt(0) lgkmcnt(0)
	buffer_gl1_inv
	buffer_gl0_inv
	v_cmpx_ne_u32_e32 0, v117
	s_cbranch_execz .LBB0_185
; %bb.183:                              ;   in Loop: Header=BB0_180 Depth=3
	ds_store_b32 v0, v117
	s_cbranch_execnz .LBB0_251
; %bb.184:                              ;   in Loop: Header=BB0_180 Depth=3
	v_mov_b32_e32 v135, 1
	s_xor_b32 s28, exec_lo, -1
.LBB0_185:                              ;   in Loop: Header=BB0_180 Depth=3
	s_or_b32 exec_lo, exec_lo, s27
	s_delay_alu instid0(SALU_CYCLE_1)
	s_or_not1_b32 s27, s28, exec_lo
.LBB0_186:                              ;   in Loop: Header=BB0_180 Depth=3
	s_or_b32 exec_lo, exec_lo, s26
	s_delay_alu instid0(SALU_CYCLE_1)
	s_or_b32 s25, s25, exec_lo
	s_and_saveexec_b32 s26, s27
	s_cbranch_execz .LBB0_179
; %bb.187:                              ;   in Loop: Header=BB0_180 Depth=3
	v_cmp_eq_u32_e64 s10, v103, v18
	v_cmp_eq_u32_e64 s11, v103, v20
	s_and_not1_b32 s25, s25, exec_lo
	s_delay_alu instid0(VALU_DEP_1) | instskip(NEXT) | instid1(SALU_CYCLE_1)
	s_and_b32 s10, s10, s11
	s_or_not1_b32 s11, s10, exec_lo
	s_branch .LBB0_179
.LBB0_188:                              ;   in Loop: Header=BB0_174 Depth=2
	s_or_b32 exec_lo, exec_lo, s23
	s_xor_b32 s10, s24, -1
	s_delay_alu instid0(SALU_CYCLE_1) | instskip(NEXT) | instid1(SALU_CYCLE_1)
	s_and_saveexec_b32 s11, s10
	s_xor_b32 s10, exec_lo, s11
	s_delay_alu instid0(SALU_CYCLE_1) | instskip(NEXT) | instid1(SALU_CYCLE_1)
	s_and_not1_saveexec_b32 s10, s10
	s_or_b32 exec_lo, exec_lo, s10
.LBB0_189:                              ;   in Loop: Header=BB0_174 Depth=2
	s_delay_alu instid0(SALU_CYCLE_1)
	s_or_b32 exec_lo, exec_lo, s12
.LBB0_190:                              ;   in Loop: Header=BB0_174 Depth=2
	s_delay_alu instid0(SALU_CYCLE_1) | instskip(SKIP_4) | instid1(VALU_DEP_3)
	s_or_b32 exec_lo, exec_lo, s22
	v_cmp_ne_u32_e64 s10, 1, v144
	s_waitcnt vmcnt(0) lgkmcnt(0)
	v_dual_max_f32 v18, v116, v116 :: v_dual_max_f32 v17, v17, v17
	v_dual_max_f32 v20, v102, v102 :: v_dual_max_f32 v19, v19, v19
	s_and_b32 s10, s8, s10
	s_delay_alu instid0(VALU_DEP_2) | instskip(NEXT) | instid1(VALU_DEP_2)
	v_min_f32_e32 v112, v17, v18
	v_dual_max_f32 v17, v17, v18 :: v_dual_min_f32 v18, v19, v20
	v_max_f32_e32 v19, v19, v20
	v_cndmask_b32_e64 v101, 0, 1, s10
	;;#ASMSTART
	;;#ASMEND
	s_delay_alu instid0(VALU_DEP_1) | instskip(SKIP_2) | instid1(VALU_DEP_3)
	v_cmp_ne_u32_e64 s10, 0, v101
	v_cndmask_b32_e64 v17, v17, v112, s9
	v_cndmask_b32_e64 v18, v19, v18, s9
	s_cmp_lg_u32 s10, exec_lo
	s_mov_b32 s10, -1
	s_cbranch_scc0 .LBB0_194
; %bb.191:                              ;   in Loop: Header=BB0_174 Depth=2
	flat_store_b32 v[96:97], v17
	s_and_saveexec_b32 s10, vcc_lo
	s_cbranch_execz .LBB0_193
; %bb.192:                              ;   in Loop: Header=BB0_174 Depth=2
	flat_store_b32 v[96:97], v18 offset:4
.LBB0_193:                              ;   in Loop: Header=BB0_174 Depth=2
	s_or_b32 exec_lo, exec_lo, s10
	s_mov_b32 s10, 0
.LBB0_194:                              ;   in Loop: Header=BB0_174 Depth=2
	s_delay_alu instid0(SALU_CYCLE_1)
	s_and_not1_b32 vcc_lo, exec_lo, s10
	s_cbranch_vccnz .LBB0_173
; %bb.195:                              ;   in Loop: Header=BB0_174 Depth=2
	global_store_b64 v[96:97], v[17:18], off
	s_branch .LBB0_173
.LBB0_196:                              ;   in Loop: Header=BB0_32 Depth=1
	s_or_b32 exec_lo, exec_lo, s21
.LBB0_197:                              ;   in Loop: Header=BB0_32 Depth=1
	s_delay_alu instid0(SALU_CYCLE_1)
	s_or_b32 exec_lo, exec_lo, s20
	s_and_saveexec_b32 s10, s3
	s_cbranch_execz .LBB0_219
; %bb.198:                              ;   in Loop: Header=BB0_32 Depth=1
	s_and_saveexec_b32 s11, s4
	s_delay_alu instid0(SALU_CYCLE_1)
	s_xor_b32 s11, exec_lo, s11
	s_cbranch_execz .LBB0_216
; %bb.199:                              ;   in Loop: Header=BB0_32 Depth=1
	s_and_saveexec_b32 s12, s5
	s_cbranch_execz .LBB0_215
; %bb.200:                              ;   in Loop: Header=BB0_32 Depth=1
	s_mov_b32 s21, exec_lo
	s_mov_b32 s20, exec_lo
	v_mbcnt_lo_u32_b32 v17, s21, 0
	s_waitcnt vmcnt(0) lgkmcnt(0)
	s_waitcnt_vscnt null, 0x0
	buffer_gl1_inv
	buffer_gl0_inv
	v_cmpx_eq_u32_e32 0, v17
	s_cbranch_execz .LBB0_202
; %bb.201:                              ;   in Loop: Header=BB0_32 Depth=1
	s_bcnt1_i32_b32 s21, s21
	s_delay_alu instid0(SALU_CYCLE_1)
	v_dual_mov_b32 v18, v118 :: v_dual_mov_b32 v17, s21
	ds_add_u64 v0, v[17:18]
	s_cbranch_execnz .LBB0_288
.LBB0_202:                              ;   in Loop: Header=BB0_32 Depth=1
	s_or_b32 exec_lo, exec_lo, s20
	s_cbranch_execnz .LBB0_276
; %bb.203:                              ;   in Loop: Header=BB0_32 Depth=1
	ds_load_b64 v[17:18], v0
	v_add_co_u32 v2, vcc_lo, v2, v119
	v_add_co_ci_u32_e32 v3, vcc_lo, v3, v69, vcc_lo
	s_mov_b32 s20, exec_lo
	s_waitcnt lgkmcnt(0)
	s_delay_alu instid0(VALU_DEP_1)
	v_cmpx_lt_u64_e64 v[17:18], v[2:3]
	s_cbranch_execz .LBB0_214
; %bb.204:                              ;   in Loop: Header=BB0_32 Depth=1
	s_mov_b32 s21, 0
	s_mov_b32 s24, 0
                                        ; implicit-def: $sgpr22
                                        ; implicit-def: $sgpr23
	s_branch .LBB0_206
.LBB0_205:                              ;   in Loop: Header=BB0_206 Depth=2
	s_or_b32 exec_lo, exec_lo, s27
	s_delay_alu instid0(SALU_CYCLE_1) | instskip(NEXT) | instid1(SALU_CYCLE_1)
	s_and_b32 s25, exec_lo, s26
	s_or_b32 s21, s25, s21
	s_and_not1_b32 s22, s22, exec_lo
	s_and_b32 s25, s23, exec_lo
	s_delay_alu instid0(SALU_CYCLE_1)
	s_or_b32 s22, s22, s25
	s_and_not1_b32 exec_lo, exec_lo, s21
	s_cbranch_execz .LBB0_212
.LBB0_206:                              ;   Parent Loop BB0_32 Depth=1
                                        ; =>  This Inner Loop Header: Depth=2
	s_add_i32 s24, s24, 1
                                        ; implicit-def: $sgpr26
	s_delay_alu instid0(SALU_CYCLE_1) | instskip(SKIP_1) | instid1(SALU_CYCLE_1)
	s_cmpk_lg_i32 s24, 0x2710
	s_cselect_b32 s25, -1, 0
	s_and_b32 vcc_lo, exec_lo, s25
	s_cbranch_vccz .LBB0_210
.LBB0_207:                              ;   in Loop: Header=BB0_206 Depth=2
	s_and_not1_b32 s23, s23, exec_lo
	s_and_b32 s27, s26, exec_lo
	s_mov_b32 s26, -1
	s_or_b32 s23, s23, s27
	s_and_saveexec_b32 s27, s25
	s_cbranch_execz .LBB0_205
; %bb.208:                              ;   in Loop: Header=BB0_206 Depth=2
	s_sleep 1
	s_cbranch_execnz .LBB0_296
; %bb.209:                              ;   in Loop: Header=BB0_206 Depth=2
	ds_load_b64 v[17:18], v0
	s_and_not1_b32 s23, s23, exec_lo
	s_waitcnt lgkmcnt(0)
	v_cmp_ge_u64_e32 vcc_lo, v[17:18], v[2:3]
	s_or_not1_b32 s26, vcc_lo, exec_lo
	s_branch .LBB0_205
.LBB0_210:                              ;   in Loop: Header=BB0_206 Depth=2
	s_cbranch_execnz .LBB0_298
; %bb.211:                              ;   in Loop: Header=BB0_206 Depth=2
	ds_load_b64 v[17:18], v0
	s_and_not1_b32 s25, s25, exec_lo
	s_mov_b32 s24, 0
	s_mov_b32 s26, -1
	s_waitcnt lgkmcnt(0)
	flat_load_b32 v17, v[17:18] glc
	s_waitcnt vmcnt(0) lgkmcnt(0)
	buffer_gl1_inv
	buffer_gl0_inv
	v_cmp_eq_u32_e32 vcc_lo, 0, v17
	s_and_b32 s27, vcc_lo, exec_lo
	s_delay_alu instid0(SALU_CYCLE_1)
	s_or_b32 s25, s25, s27
	s_branch .LBB0_207
.LBB0_212:                              ;   in Loop: Header=BB0_32 Depth=1
	s_or_b32 exec_lo, exec_lo, s21
	s_and_saveexec_b32 s21, s22
	s_delay_alu instid0(SALU_CYCLE_1)
	s_xor_b32 s21, exec_lo, s21
	s_cbranch_execz .LBB0_214
; %bb.213:                              ;   in Loop: Header=BB0_32 Depth=1
	ds_store_b32 v0, v71
	s_cbranch_execnz .LBB0_315
.LBB0_214:                              ;   in Loop: Header=BB0_32 Depth=1
	s_or_b32 exec_lo, exec_lo, s20
	;;#ASMSTART
	s_wakeup
	;;#ASMEND
.LBB0_215:                              ;   in Loop: Header=BB0_32 Depth=1
	s_or_b32 exec_lo, exec_lo, s12
.LBB0_216:                              ;   in Loop: Header=BB0_32 Depth=1
	s_and_not1_saveexec_b32 s11, s11
	s_cbranch_execz .LBB0_218
; %bb.217:                              ;   in Loop: Header=BB0_32 Depth=1
	s_waitcnt vmcnt(0) lgkmcnt(0)
	s_waitcnt_vscnt null, 0x0
	buffer_gl1_inv
	buffer_gl0_inv
	s_barrier
.LBB0_218:                              ;   in Loop: Header=BB0_32 Depth=1
	s_or_b32 exec_lo, exec_lo, s11
.LBB0_219:                              ;   in Loop: Header=BB0_32 Depth=1
	s_delay_alu instid0(SALU_CYCLE_1)
	s_or_b32 exec_lo, exec_lo, s10
	s_and_saveexec_b32 s10, s7
	s_cbranch_execz .LBB0_221
; %bb.220:                              ;   in Loop: Header=BB0_32 Depth=1
	v_add_co_u32 v48, vcc_lo, v48, 1
	v_add_co_ci_u32_e32 v49, vcc_lo, 0, v49, vcc_lo
	s_waitcnt vmcnt(0) lgkmcnt(0)
	s_waitcnt_vscnt null, 0x0
	flat_store_b64 v[36:37], v[48:49]
.LBB0_221:                              ;   in Loop: Header=BB0_32 Depth=1
	s_or_b32 exec_lo, exec_lo, s10
	v_add_co_u32 v82, vcc_lo, v82, v54
	v_add_co_ci_u32_e32 v83, vcc_lo, 0, v83, vcc_lo
	v_add_co_u32 v32, vcc_lo, v32, 1
	v_add_co_ci_u32_e32 v33, vcc_lo, 0, v33, vcc_lo
	s_delay_alu instid0(VALU_DEP_3) | instskip(SKIP_1) | instid1(VALU_DEP_1)
	v_cmp_ge_u64_e32 vcc_lo, v[82:83], v[7:8]
	v_add_co_u32 v9, s10, v9, v134
	v_add_co_ci_u32_e64 v10, s10, 0, v10, s10
	s_or_b32 s18, vcc_lo, s18
	s_delay_alu instid0(SALU_CYCLE_1)
	s_and_not1_b32 exec_lo, exec_lo, s18
	s_cbranch_execnz .LBB0_32
; %bb.222:
	s_or_b32 exec_lo, exec_lo, s18
.LBB0_223:
	s_delay_alu instid0(SALU_CYCLE_1)
	s_or_b32 exec_lo, exec_lo, s16
	s_and_saveexec_b32 s1, s13
	s_cbranch_execz .LBB0_225
; %bb.224:
	s_waitcnt vmcnt(0) lgkmcnt(0)
	flat_store_b64 v[27:28], v[48:49] offset:104
.LBB0_225:
	s_or_b32 exec_lo, exec_lo, s1
	s_and_saveexec_b32 s1, s0
	s_cbranch_execz .LBB0_227
; %bb.226:
	s_waitcnt vmcnt(0) lgkmcnt(0)
	flat_store_b64 v[34:35], v[15:16] offset:104
.LBB0_227:
	s_or_b32 exec_lo, exec_lo, s1
	s_delay_alu instid0(SALU_CYCLE_1)
	s_mov_b32 s0, exec_lo
	v_cmpx_ne_u32_e32 32, v1
	s_cbranch_execz .LBB0_306
; %bb.228:
	s_mov_b32 s1, exec_lo
	v_cmpx_ne_u32_e64 v0, v1
	s_xor_b32 s1, exec_lo, s1
	s_cbranch_execz .LBB0_304
; %bb.229:
	v_and_b32_e32 v0, 31, v31
	s_mov_b32 s2, exec_lo
	s_delay_alu instid0(VALU_DEP_1)
	v_cmpx_eq_u32_e32 0, v0
	s_cbranch_execz .LBB0_303
; %bb.230:
	s_mov_b32 s4, exec_lo
	s_mov_b32 s3, exec_lo
	v_mbcnt_lo_u32_b32 v0, s4, 0
	s_waitcnt vmcnt(0) lgkmcnt(0)
	s_waitcnt_vscnt null, 0x0
	buffer_gl1_inv
	buffer_gl0_inv
	v_cmpx_eq_u32_e32 0, v0
	s_cbranch_execz .LBB0_232
; %bb.231:
	s_bcnt1_i32_b32 s4, s4
	s_delay_alu instid0(SALU_CYCLE_1)
	v_dual_mov_b32 v5, 0 :: v_dual_mov_b32 v4, s4
	ds_add_u64 v0, v[4:5]
	s_cbranch_execnz .LBB0_264
.LBB0_232:
	s_or_b32 exec_lo, exec_lo, s3
	s_cbranch_execnz .LBB0_249
; %bb.233:
	v_ashrrev_i32_e32 v0, 31, v1
	s_mov_b32 s3, exec_lo
	s_delay_alu instid0(VALU_DEP_1) | instskip(NEXT) | instid1(VALU_DEP_1)
	v_lshrrev_b32_e32 v0, 27, v0
	v_add_nc_u32_e32 v0, v1, v0
	ds_load_b64 v[4:5], v0
	v_ashrrev_i32_e32 v0, 5, v0
	s_delay_alu instid0(VALU_DEP_1) | instskip(SKIP_1) | instid1(VALU_DEP_2)
	v_ashrrev_i32_e32 v1, 31, v0
	v_add_co_u32 v0, vcc_lo, v2, v0
	v_add_co_ci_u32_e32 v1, vcc_lo, v3, v1, vcc_lo
	s_waitcnt lgkmcnt(0)
	s_delay_alu instid0(VALU_DEP_1)
	v_cmpx_lt_u64_e64 v[4:5], v[0:1]
	s_cbranch_execz .LBB0_302
; %bb.234:
	s_mov_b32 s4, 0
	s_mov_b32 s7, 0
                                        ; implicit-def: $sgpr5
                                        ; implicit-def: $sgpr6
	s_branch .LBB0_254
.LBB0_235:
	s_trap 2
	s_sendmsg_rtn_b32 s0, sendmsg(MSG_RTN_GET_DOORBELL)
	s_mov_b32 ttmp2, m0
	s_waitcnt lgkmcnt(0)
	s_and_b32 s0, s0, 0x3ff
	s_delay_alu instid0(SALU_CYCLE_1) | instskip(NEXT) | instid1(SALU_CYCLE_1)
	s_bitset1_b32 s0, 10
	s_mov_b32 m0, s0
	s_sendmsg sendmsg(MSG_INTERRUPT)
	s_mov_b32 m0, ttmp2
.LBB0_236:                              ; =>This Inner Loop Header: Depth=1
	s_sethalt 5
	s_branch .LBB0_236
.LBB0_237:
	s_trap 2
	s_sendmsg_rtn_b32 s0, sendmsg(MSG_RTN_GET_DOORBELL)
	s_mov_b32 ttmp2, m0
	s_waitcnt lgkmcnt(0)
	s_and_b32 s0, s0, 0x3ff
	s_delay_alu instid0(SALU_CYCLE_1) | instskip(NEXT) | instid1(SALU_CYCLE_1)
	s_bitset1_b32 s0, 10
	s_mov_b32 m0, s0
	s_sendmsg sendmsg(MSG_INTERRUPT)
	s_mov_b32 m0, ttmp2
.LBB0_238:                              ; =>This Inner Loop Header: Depth=1
	s_sethalt 5
	s_branch .LBB0_238
.LBB0_239:
	s_trap 2
	s_sendmsg_rtn_b32 s0, sendmsg(MSG_RTN_GET_DOORBELL)
	s_mov_b32 ttmp2, m0
	s_waitcnt lgkmcnt(0)
	s_and_b32 s0, s0, 0x3ff
	s_delay_alu instid0(SALU_CYCLE_1) | instskip(NEXT) | instid1(SALU_CYCLE_1)
	s_bitset1_b32 s0, 10
	s_mov_b32 m0, s0
	s_sendmsg sendmsg(MSG_INTERRUPT)
	s_mov_b32 m0, ttmp2
.LBB0_240:                              ; =>This Inner Loop Header: Depth=1
	s_sethalt 5
	s_branch .LBB0_240
.LBB0_241:
	s_trap 2
	s_sendmsg_rtn_b32 s0, sendmsg(MSG_RTN_GET_DOORBELL)
	s_mov_b32 ttmp2, m0
	s_waitcnt lgkmcnt(0)
	s_and_b32 s0, s0, 0x3ff
	s_delay_alu instid0(SALU_CYCLE_1) | instskip(NEXT) | instid1(SALU_CYCLE_1)
	s_bitset1_b32 s0, 10
	s_mov_b32 m0, s0
	s_sendmsg sendmsg(MSG_INTERRUPT)
	s_mov_b32 m0, ttmp2
.LBB0_242:                              ; =>This Inner Loop Header: Depth=1
	s_sethalt 5
	s_branch .LBB0_242
.LBB0_243:
	s_trap 2
	s_sendmsg_rtn_b32 s0, sendmsg(MSG_RTN_GET_DOORBELL)
	s_mov_b32 ttmp2, m0
	s_waitcnt lgkmcnt(0)
	s_and_b32 s0, s0, 0x3ff
	s_delay_alu instid0(SALU_CYCLE_1) | instskip(NEXT) | instid1(SALU_CYCLE_1)
	s_bitset1_b32 s0, 10
	s_mov_b32 m0, s0
	s_sendmsg sendmsg(MSG_INTERRUPT)
	s_mov_b32 m0, ttmp2
.LBB0_244:                              ; =>This Inner Loop Header: Depth=1
	s_sethalt 5
	s_branch .LBB0_244
.LBB0_245:
	s_trap 2
	s_sendmsg_rtn_b32 s0, sendmsg(MSG_RTN_GET_DOORBELL)
	s_mov_b32 ttmp2, m0
	s_waitcnt lgkmcnt(0)
	s_and_b32 s0, s0, 0x3ff
	s_delay_alu instid0(SALU_CYCLE_1) | instskip(NEXT) | instid1(SALU_CYCLE_1)
	s_bitset1_b32 s0, 10
	s_mov_b32 m0, s0
	s_sendmsg sendmsg(MSG_INTERRUPT)
	s_mov_b32 m0, ttmp2
.LBB0_246:                              ; =>This Inner Loop Header: Depth=1
	s_sethalt 5
	s_branch .LBB0_246
.LBB0_247:
	s_trap 2
	s_sendmsg_rtn_b32 s0, sendmsg(MSG_RTN_GET_DOORBELL)
	s_mov_b32 ttmp2, m0
	s_waitcnt lgkmcnt(0)
	s_and_b32 s0, s0, 0x3ff
	s_delay_alu instid0(SALU_CYCLE_1) | instskip(NEXT) | instid1(SALU_CYCLE_1)
	s_bitset1_b32 s0, 10
	s_mov_b32 m0, s0
	s_sendmsg sendmsg(MSG_INTERRUPT)
	s_mov_b32 m0, ttmp2
.LBB0_248:                              ; =>This Inner Loop Header: Depth=1
	s_sethalt 5
	s_branch .LBB0_248
.LBB0_249:
	s_trap 2
	s_sendmsg_rtn_b32 s0, sendmsg(MSG_RTN_GET_DOORBELL)
	s_mov_b32 ttmp2, m0
	s_waitcnt lgkmcnt(0)
	s_and_b32 s0, s0, 0x3ff
	s_delay_alu instid0(SALU_CYCLE_1) | instskip(NEXT) | instid1(SALU_CYCLE_1)
	s_bitset1_b32 s0, 10
	s_mov_b32 m0, s0
	s_sendmsg sendmsg(MSG_INTERRUPT)
	s_mov_b32 m0, ttmp2
.LBB0_250:                              ; =>This Inner Loop Header: Depth=1
	s_sethalt 5
	s_branch .LBB0_250
.LBB0_251:
	s_trap 2
	s_sendmsg_rtn_b32 s0, sendmsg(MSG_RTN_GET_DOORBELL)
	s_mov_b32 ttmp2, m0
	s_waitcnt lgkmcnt(0)
	s_and_b32 s0, s0, 0x3ff
	s_delay_alu instid0(SALU_CYCLE_1) | instskip(NEXT) | instid1(SALU_CYCLE_1)
	s_bitset1_b32 s0, 10
	s_mov_b32 m0, s0
	s_sendmsg sendmsg(MSG_INTERRUPT)
	s_mov_b32 m0, ttmp2
.LBB0_252:                              ; =>This Inner Loop Header: Depth=1
	s_sethalt 5
	s_branch .LBB0_252
.LBB0_253:                              ;   in Loop: Header=BB0_254 Depth=1
	s_or_b32 exec_lo, exec_lo, s10
	s_delay_alu instid0(SALU_CYCLE_1) | instskip(NEXT) | instid1(SALU_CYCLE_1)
	s_and_b32 s8, exec_lo, s9
	s_or_b32 s4, s8, s4
	s_and_not1_b32 s5, s5, exec_lo
	s_and_b32 s8, s6, exec_lo
	s_delay_alu instid0(SALU_CYCLE_1)
	s_or_b32 s5, s5, s8
	s_and_not1_b32 exec_lo, exec_lo, s4
	s_cbranch_execz .LBB0_300
.LBB0_254:                              ; =>This Inner Loop Header: Depth=1
	s_add_i32 s7, s7, 1
                                        ; implicit-def: $sgpr9
	s_delay_alu instid0(SALU_CYCLE_1) | instskip(SKIP_1) | instid1(SALU_CYCLE_1)
	s_cmpk_lg_i32 s7, 0x2710
	s_cselect_b32 s8, -1, 0
	s_and_b32 vcc_lo, exec_lo, s8
	s_cbranch_vccz .LBB0_258
.LBB0_255:                              ;   in Loop: Header=BB0_254 Depth=1
	s_and_not1_b32 s6, s6, exec_lo
	s_and_b32 s10, s9, exec_lo
	s_mov_b32 s9, -1
	s_or_b32 s6, s6, s10
	s_and_saveexec_b32 s10, s8
	s_cbranch_execz .LBB0_253
; %bb.256:                              ;   in Loop: Header=BB0_254 Depth=1
	s_sleep 1
	s_cbranch_execnz .LBB0_278
; %bb.257:                              ;   in Loop: Header=BB0_254 Depth=1
	ds_load_b64 v[2:3], v0
	s_and_not1_b32 s6, s6, exec_lo
	s_waitcnt lgkmcnt(0)
	v_cmp_ge_u64_e32 vcc_lo, v[2:3], v[0:1]
	s_or_not1_b32 s9, vcc_lo, exec_lo
	s_branch .LBB0_253
.LBB0_258:                              ;   in Loop: Header=BB0_254 Depth=1
	s_cbranch_execnz .LBB0_284
; %bb.259:                              ;   in Loop: Header=BB0_254 Depth=1
	ds_load_b64 v[2:3], v0
	s_and_not1_b32 s8, s8, exec_lo
	s_mov_b32 s7, 0
	s_mov_b32 s9, -1
	s_waitcnt lgkmcnt(0)
	flat_load_b32 v2, v[2:3] glc
	s_waitcnt vmcnt(0) lgkmcnt(0)
	buffer_gl1_inv
	buffer_gl0_inv
	v_cmp_eq_u32_e32 vcc_lo, 0, v2
	s_and_b32 s10, vcc_lo, exec_lo
	s_delay_alu instid0(SALU_CYCLE_1)
	s_or_b32 s8, s8, s10
	s_branch .LBB0_255
.LBB0_260:
	s_trap 2
	s_sendmsg_rtn_b32 s0, sendmsg(MSG_RTN_GET_DOORBELL)
	s_mov_b32 ttmp2, m0
	s_waitcnt lgkmcnt(0)
	s_and_b32 s0, s0, 0x3ff
	s_delay_alu instid0(SALU_CYCLE_1) | instskip(NEXT) | instid1(SALU_CYCLE_1)
	s_bitset1_b32 s0, 10
	s_mov_b32 m0, s0
	s_sendmsg sendmsg(MSG_INTERRUPT)
	s_mov_b32 m0, ttmp2
.LBB0_261:                              ; =>This Inner Loop Header: Depth=1
	s_sethalt 5
	s_branch .LBB0_261
.LBB0_262:
	s_trap 2
	s_sendmsg_rtn_b32 s0, sendmsg(MSG_RTN_GET_DOORBELL)
	s_mov_b32 ttmp2, m0
	s_waitcnt lgkmcnt(0)
	s_and_b32 s0, s0, 0x3ff
	s_delay_alu instid0(SALU_CYCLE_1) | instskip(NEXT) | instid1(SALU_CYCLE_1)
	s_bitset1_b32 s0, 10
	s_mov_b32 m0, s0
	s_sendmsg sendmsg(MSG_INTERRUPT)
	s_mov_b32 m0, ttmp2
.LBB0_263:                              ; =>This Inner Loop Header: Depth=1
	s_sethalt 5
	s_branch .LBB0_263
.LBB0_264:
	s_trap 2
	s_sendmsg_rtn_b32 s0, sendmsg(MSG_RTN_GET_DOORBELL)
	s_mov_b32 ttmp2, m0
	s_waitcnt lgkmcnt(0)
	s_and_b32 s0, s0, 0x3ff
	s_delay_alu instid0(SALU_CYCLE_1) | instskip(NEXT) | instid1(SALU_CYCLE_1)
	s_bitset1_b32 s0, 10
	s_mov_b32 m0, s0
	s_sendmsg sendmsg(MSG_INTERRUPT)
	s_mov_b32 m0, ttmp2
.LBB0_265:                              ; =>This Inner Loop Header: Depth=1
	s_sethalt 5
	s_branch .LBB0_265
.LBB0_266:
	s_trap 2
	s_sendmsg_rtn_b32 s0, sendmsg(MSG_RTN_GET_DOORBELL)
	s_mov_b32 ttmp2, m0
	s_waitcnt lgkmcnt(0)
	s_and_b32 s0, s0, 0x3ff
	s_delay_alu instid0(SALU_CYCLE_1) | instskip(NEXT) | instid1(SALU_CYCLE_1)
	s_bitset1_b32 s0, 10
	s_mov_b32 m0, s0
	s_sendmsg sendmsg(MSG_INTERRUPT)
	s_mov_b32 m0, ttmp2
.LBB0_267:                              ; =>This Inner Loop Header: Depth=1
	s_sethalt 5
	s_branch .LBB0_267
.LBB0_268:
	s_trap 2
	s_sendmsg_rtn_b32 s0, sendmsg(MSG_RTN_GET_DOORBELL)
	s_mov_b32 ttmp2, m0
	s_waitcnt lgkmcnt(0)
	s_and_b32 s0, s0, 0x3ff
	s_delay_alu instid0(SALU_CYCLE_1) | instskip(NEXT) | instid1(SALU_CYCLE_1)
	s_bitset1_b32 s0, 10
	s_mov_b32 m0, s0
	s_sendmsg sendmsg(MSG_INTERRUPT)
	s_mov_b32 m0, ttmp2
.LBB0_269:                              ; =>This Inner Loop Header: Depth=1
	s_sethalt 5
	s_branch .LBB0_269
.LBB0_270:
	s_trap 2
	s_sendmsg_rtn_b32 s0, sendmsg(MSG_RTN_GET_DOORBELL)
	s_mov_b32 ttmp2, m0
	s_waitcnt lgkmcnt(0)
	s_and_b32 s0, s0, 0x3ff
	s_delay_alu instid0(SALU_CYCLE_1) | instskip(NEXT) | instid1(SALU_CYCLE_1)
	s_bitset1_b32 s0, 10
	s_mov_b32 m0, s0
	s_sendmsg sendmsg(MSG_INTERRUPT)
	s_mov_b32 m0, ttmp2
.LBB0_271:                              ; =>This Inner Loop Header: Depth=1
	s_sethalt 5
	s_branch .LBB0_271
.LBB0_272:
	s_trap 2
	s_sendmsg_rtn_b32 s0, sendmsg(MSG_RTN_GET_DOORBELL)
	s_mov_b32 ttmp2, m0
	s_waitcnt lgkmcnt(0)
	s_and_b32 s0, s0, 0x3ff
	s_delay_alu instid0(SALU_CYCLE_1) | instskip(NEXT) | instid1(SALU_CYCLE_1)
	s_bitset1_b32 s0, 10
	s_mov_b32 m0, s0
	s_sendmsg sendmsg(MSG_INTERRUPT)
	s_mov_b32 m0, ttmp2
.LBB0_273:                              ; =>This Inner Loop Header: Depth=1
	s_sethalt 5
	s_branch .LBB0_273
.LBB0_274:
	s_trap 2
	s_sendmsg_rtn_b32 s0, sendmsg(MSG_RTN_GET_DOORBELL)
	s_mov_b32 ttmp2, m0
	s_waitcnt lgkmcnt(0)
	s_and_b32 s0, s0, 0x3ff
	s_delay_alu instid0(SALU_CYCLE_1) | instskip(NEXT) | instid1(SALU_CYCLE_1)
	s_bitset1_b32 s0, 10
	s_mov_b32 m0, s0
	s_sendmsg sendmsg(MSG_INTERRUPT)
	s_mov_b32 m0, ttmp2
.LBB0_275:                              ; =>This Inner Loop Header: Depth=1
	s_sethalt 5
	s_branch .LBB0_275
.LBB0_276:
	s_trap 2
	s_sendmsg_rtn_b32 s0, sendmsg(MSG_RTN_GET_DOORBELL)
	s_mov_b32 ttmp2, m0
	s_waitcnt lgkmcnt(0)
	s_and_b32 s0, s0, 0x3ff
	s_delay_alu instid0(SALU_CYCLE_1) | instskip(NEXT) | instid1(SALU_CYCLE_1)
	s_bitset1_b32 s0, 10
	s_mov_b32 m0, s0
	s_sendmsg sendmsg(MSG_INTERRUPT)
	s_mov_b32 m0, ttmp2
.LBB0_277:                              ; =>This Inner Loop Header: Depth=1
	s_sethalt 5
	s_branch .LBB0_277
.LBB0_278:
	s_trap 2
	s_sendmsg_rtn_b32 s0, sendmsg(MSG_RTN_GET_DOORBELL)
	s_mov_b32 ttmp2, m0
	s_waitcnt lgkmcnt(0)
	s_and_b32 s0, s0, 0x3ff
	s_delay_alu instid0(SALU_CYCLE_1) | instskip(NEXT) | instid1(SALU_CYCLE_1)
	s_bitset1_b32 s0, 10
	s_mov_b32 m0, s0
	s_sendmsg sendmsg(MSG_INTERRUPT)
	s_mov_b32 m0, ttmp2
.LBB0_279:                              ; =>This Inner Loop Header: Depth=1
	s_sethalt 5
	s_branch .LBB0_279
.LBB0_280:
	s_trap 2
	s_sendmsg_rtn_b32 s0, sendmsg(MSG_RTN_GET_DOORBELL)
	s_mov_b32 ttmp2, m0
	s_waitcnt lgkmcnt(0)
	s_and_b32 s0, s0, 0x3ff
	s_delay_alu instid0(SALU_CYCLE_1) | instskip(NEXT) | instid1(SALU_CYCLE_1)
	s_bitset1_b32 s0, 10
	s_mov_b32 m0, s0
	s_sendmsg sendmsg(MSG_INTERRUPT)
	s_mov_b32 m0, ttmp2
.LBB0_281:                              ; =>This Inner Loop Header: Depth=1
	s_sethalt 5
	s_branch .LBB0_281
.LBB0_282:
	s_trap 2
	s_sendmsg_rtn_b32 s0, sendmsg(MSG_RTN_GET_DOORBELL)
	s_mov_b32 ttmp2, m0
	s_waitcnt lgkmcnt(0)
	s_and_b32 s0, s0, 0x3ff
	s_delay_alu instid0(SALU_CYCLE_1) | instskip(NEXT) | instid1(SALU_CYCLE_1)
	s_bitset1_b32 s0, 10
	s_mov_b32 m0, s0
	s_sendmsg sendmsg(MSG_INTERRUPT)
	s_mov_b32 m0, ttmp2
.LBB0_283:                              ; =>This Inner Loop Header: Depth=1
	s_sethalt 5
	s_branch .LBB0_283
.LBB0_284:
	s_trap 2
	s_sendmsg_rtn_b32 s0, sendmsg(MSG_RTN_GET_DOORBELL)
	s_mov_b32 ttmp2, m0
	s_waitcnt lgkmcnt(0)
	s_and_b32 s0, s0, 0x3ff
	s_delay_alu instid0(SALU_CYCLE_1) | instskip(NEXT) | instid1(SALU_CYCLE_1)
	s_bitset1_b32 s0, 10
	s_mov_b32 m0, s0
	s_sendmsg sendmsg(MSG_INTERRUPT)
	s_mov_b32 m0, ttmp2
.LBB0_285:                              ; =>This Inner Loop Header: Depth=1
	s_sethalt 5
	s_branch .LBB0_285
.LBB0_286:
	s_trap 2
	s_sendmsg_rtn_b32 s0, sendmsg(MSG_RTN_GET_DOORBELL)
	s_mov_b32 ttmp2, m0
	s_waitcnt lgkmcnt(0)
	s_and_b32 s0, s0, 0x3ff
	s_delay_alu instid0(SALU_CYCLE_1) | instskip(NEXT) | instid1(SALU_CYCLE_1)
	s_bitset1_b32 s0, 10
	s_mov_b32 m0, s0
	s_sendmsg sendmsg(MSG_INTERRUPT)
	s_mov_b32 m0, ttmp2
.LBB0_287:                              ; =>This Inner Loop Header: Depth=1
	s_sethalt 5
	s_branch .LBB0_287
.LBB0_288:
	s_trap 2
	s_sendmsg_rtn_b32 s0, sendmsg(MSG_RTN_GET_DOORBELL)
	s_mov_b32 ttmp2, m0
	s_waitcnt lgkmcnt(0)
	s_and_b32 s0, s0, 0x3ff
	s_delay_alu instid0(SALU_CYCLE_1) | instskip(NEXT) | instid1(SALU_CYCLE_1)
	s_bitset1_b32 s0, 10
	s_mov_b32 m0, s0
	s_sendmsg sendmsg(MSG_INTERRUPT)
	s_mov_b32 m0, ttmp2
.LBB0_289:                              ; =>This Inner Loop Header: Depth=1
	s_sethalt 5
	s_branch .LBB0_289
.LBB0_290:
	s_trap 2
	s_sendmsg_rtn_b32 s0, sendmsg(MSG_RTN_GET_DOORBELL)
	s_mov_b32 ttmp2, m0
	s_waitcnt lgkmcnt(0)
	s_and_b32 s0, s0, 0x3ff
	s_delay_alu instid0(SALU_CYCLE_1) | instskip(NEXT) | instid1(SALU_CYCLE_1)
	s_bitset1_b32 s0, 10
	s_mov_b32 m0, s0
	s_sendmsg sendmsg(MSG_INTERRUPT)
	s_mov_b32 m0, ttmp2
.LBB0_291:                              ; =>This Inner Loop Header: Depth=1
	s_sethalt 5
	s_branch .LBB0_291
.LBB0_292:
	s_trap 2
	s_sendmsg_rtn_b32 s0, sendmsg(MSG_RTN_GET_DOORBELL)
	s_mov_b32 ttmp2, m0
	s_waitcnt lgkmcnt(0)
	s_and_b32 s0, s0, 0x3ff
	s_delay_alu instid0(SALU_CYCLE_1) | instskip(NEXT) | instid1(SALU_CYCLE_1)
	s_bitset1_b32 s0, 10
	s_mov_b32 m0, s0
	s_sendmsg sendmsg(MSG_INTERRUPT)
	s_mov_b32 m0, ttmp2
.LBB0_293:                              ; =>This Inner Loop Header: Depth=1
	s_sethalt 5
	s_branch .LBB0_293
.LBB0_294:
	s_trap 2
	s_sendmsg_rtn_b32 s0, sendmsg(MSG_RTN_GET_DOORBELL)
	s_mov_b32 ttmp2, m0
	s_waitcnt lgkmcnt(0)
	s_and_b32 s0, s0, 0x3ff
	s_delay_alu instid0(SALU_CYCLE_1) | instskip(NEXT) | instid1(SALU_CYCLE_1)
	s_bitset1_b32 s0, 10
	s_mov_b32 m0, s0
	s_sendmsg sendmsg(MSG_INTERRUPT)
	s_mov_b32 m0, ttmp2
.LBB0_295:                              ; =>This Inner Loop Header: Depth=1
	s_sethalt 5
	s_branch .LBB0_295
.LBB0_296:
	s_trap 2
	s_sendmsg_rtn_b32 s0, sendmsg(MSG_RTN_GET_DOORBELL)
	s_mov_b32 ttmp2, m0
	s_waitcnt lgkmcnt(0)
	s_and_b32 s0, s0, 0x3ff
	s_delay_alu instid0(SALU_CYCLE_1) | instskip(NEXT) | instid1(SALU_CYCLE_1)
	s_bitset1_b32 s0, 10
	s_mov_b32 m0, s0
	s_sendmsg sendmsg(MSG_INTERRUPT)
	s_mov_b32 m0, ttmp2
.LBB0_297:                              ; =>This Inner Loop Header: Depth=1
	s_sethalt 5
	s_branch .LBB0_297
.LBB0_298:
	s_trap 2
	s_sendmsg_rtn_b32 s0, sendmsg(MSG_RTN_GET_DOORBELL)
	s_mov_b32 ttmp2, m0
	s_waitcnt lgkmcnt(0)
	s_and_b32 s0, s0, 0x3ff
	s_delay_alu instid0(SALU_CYCLE_1) | instskip(NEXT) | instid1(SALU_CYCLE_1)
	s_bitset1_b32 s0, 10
	s_mov_b32 m0, s0
	s_sendmsg sendmsg(MSG_INTERRUPT)
	s_mov_b32 m0, ttmp2
.LBB0_299:                              ; =>This Inner Loop Header: Depth=1
	s_sethalt 5
	s_branch .LBB0_299
.LBB0_300:
	s_or_b32 exec_lo, exec_lo, s4
	s_and_saveexec_b32 s4, s5
	s_delay_alu instid0(SALU_CYCLE_1)
	s_xor_b32 s4, exec_lo, s4
	s_cbranch_execz .LBB0_302
; %bb.301:
	v_mov_b32_e32 v0, 1
	ds_store_b32 v0, v0
	s_cbranch_execnz .LBB0_309
.LBB0_302:
	s_or_b32 exec_lo, exec_lo, s3
	;;#ASMSTART
	s_wakeup
	;;#ASMEND
.LBB0_303:
	s_or_b32 exec_lo, exec_lo, s2
.LBB0_304:
	s_and_not1_saveexec_b32 s1, s1
	s_cbranch_execz .LBB0_306
; %bb.305:
	s_waitcnt vmcnt(0) lgkmcnt(0)
	s_waitcnt_vscnt null, 0x0
	buffer_gl1_inv
	buffer_gl0_inv
	s_barrier
.LBB0_306:
	s_or_b32 exec_lo, exec_lo, s0
	s_waitcnt vmcnt(0) lgkmcnt(0)
	s_setpc_b64 s[30:31]
.LBB0_307:
	s_trap 2
	s_sendmsg_rtn_b32 s0, sendmsg(MSG_RTN_GET_DOORBELL)
	s_mov_b32 ttmp2, m0
	s_waitcnt lgkmcnt(0)
	s_and_b32 s0, s0, 0x3ff
	s_delay_alu instid0(SALU_CYCLE_1) | instskip(NEXT) | instid1(SALU_CYCLE_1)
	s_bitset1_b32 s0, 10
	s_mov_b32 m0, s0
	s_sendmsg sendmsg(MSG_INTERRUPT)
	s_mov_b32 m0, ttmp2
.LBB0_308:                              ; =>This Inner Loop Header: Depth=1
	s_sethalt 5
	s_branch .LBB0_308
.LBB0_309:
	s_trap 2
	s_sendmsg_rtn_b32 s0, sendmsg(MSG_RTN_GET_DOORBELL)
	s_mov_b32 ttmp2, m0
	s_waitcnt lgkmcnt(0)
	s_and_b32 s0, s0, 0x3ff
	s_delay_alu instid0(SALU_CYCLE_1) | instskip(NEXT) | instid1(SALU_CYCLE_1)
	s_bitset1_b32 s0, 10
	s_mov_b32 m0, s0
	s_sendmsg sendmsg(MSG_INTERRUPT)
	s_mov_b32 m0, ttmp2
.LBB0_310:                              ; =>This Inner Loop Header: Depth=1
	s_sethalt 5
	s_branch .LBB0_310
.LBB0_311:
	s_trap 2
	s_sendmsg_rtn_b32 s0, sendmsg(MSG_RTN_GET_DOORBELL)
	s_mov_b32 ttmp2, m0
	s_waitcnt lgkmcnt(0)
	s_and_b32 s0, s0, 0x3ff
	s_delay_alu instid0(SALU_CYCLE_1) | instskip(NEXT) | instid1(SALU_CYCLE_1)
	s_bitset1_b32 s0, 10
	s_mov_b32 m0, s0
	s_sendmsg sendmsg(MSG_INTERRUPT)
	s_mov_b32 m0, ttmp2
.LBB0_312:                              ; =>This Inner Loop Header: Depth=1
	s_sethalt 5
	s_branch .LBB0_312
.LBB0_313:
	s_trap 2
	s_sendmsg_rtn_b32 s0, sendmsg(MSG_RTN_GET_DOORBELL)
	s_mov_b32 ttmp2, m0
	s_waitcnt lgkmcnt(0)
	s_and_b32 s0, s0, 0x3ff
	s_delay_alu instid0(SALU_CYCLE_1) | instskip(NEXT) | instid1(SALU_CYCLE_1)
	s_bitset1_b32 s0, 10
	s_mov_b32 m0, s0
	s_sendmsg sendmsg(MSG_INTERRUPT)
	s_mov_b32 m0, ttmp2
.LBB0_314:                              ; =>This Inner Loop Header: Depth=1
	s_sethalt 5
	s_branch .LBB0_314
.LBB0_315:
	s_trap 2
	s_sendmsg_rtn_b32 s0, sendmsg(MSG_RTN_GET_DOORBELL)
	s_mov_b32 ttmp2, m0
	s_waitcnt lgkmcnt(0)
	s_and_b32 s0, s0, 0x3ff
	s_delay_alu instid0(SALU_CYCLE_1) | instskip(NEXT) | instid1(SALU_CYCLE_1)
	s_bitset1_b32 s0, 10
	s_mov_b32 m0, s0
	s_sendmsg sendmsg(MSG_INTERRUPT)
	s_mov_b32 m0, ttmp2
.LBB0_316:                              ; =>This Inner Loop Header: Depth=1
	s_sethalt 5
	s_branch .LBB0_316
.Lfunc_end0:
	.size	_ZN12_GLOBAL__N_17runRingIf10FuncMinMaxIfE7ProtoLLLi0ELi1ELi0EEEviiP15ncclDevWorkColl, .Lfunc_end0-_ZN12_GLOBAL__N_17runRingIf10FuncMinMaxIfE7ProtoLLLi0ELi1ELi0EEEviiP15ncclDevWorkColl
                                        ; -- End function
	.section	.AMDGPU.csdata,"",@progbits
; Function info:
; codeLenInByte = 9608
; NumSgprs: 34
; NumVgprs: 166
; ScratchSize: 0
; MemoryBound: 0
	.text
	.p2align	2                               ; -- Begin function _Z50ncclDevFunc_ReduceScatter_RING_LL_MinMax_f32_0_0_1v
	.type	_Z50ncclDevFunc_ReduceScatter_RING_LL_MinMax_f32_0_0_1v,@function
_Z50ncclDevFunc_ReduceScatter_RING_LL_MinMax_f32_0_0_1v: ; @_Z50ncclDevFunc_ReduceScatter_RING_LL_MinMax_f32_0_0_1v
; %bb.0:
	s_waitcnt vmcnt(0) expcnt(0) lgkmcnt(0)
	s_mov_b32 s0, s33
	s_mov_b32 s33, s32
	s_or_saveexec_b32 s1, -1
	scratch_store_b32 off, v40, s33         ; 4-byte Folded Spill
	s_mov_b32 exec_lo, s1
	v_writelane_b32 v40, s0, 8
	s_add_i32 s32, s32, 16
	v_writelane_b32 v40, s34, 0
	v_writelane_b32 v40, s35, 1
	;; [unrolled: 1-line block ×8, first 2 shown]
	s_cbranch_execnz .LBB1_7
; %bb.1:
	ds_load_b32 v2, v0
	v_and_b32_e32 v166, 0x3ff, v31
	s_mov_b32 s0, exec_lo
	s_waitcnt lgkmcnt(0)
	s_delay_alu instid0(VALU_DEP_1)
	v_cmpx_lt_i32_e64 v166, v2
	s_cbranch_execz .LBB1_9
; %bb.2:
	s_load_b32 s1, s[8:9], 0x0
	v_mov_b32_e32 v1, 0
	s_waitcnt lgkmcnt(0)
	s_cmp_lt_u32 s12, s1
	s_cselect_b32 s1, 12, 18
	s_delay_alu instid0(SALU_CYCLE_1)
	s_add_u32 s2, s8, s1
	s_addc_u32 s3, s9, 0
	s_mov_b32 s1, 0
	global_load_u16 v3, v1, s[2:3]
	s_cbranch_execnz .LBB1_24
; %bb.3:
	ds_load_b32 v0, v0
	v_mov_b32_e32 v5, v166
                                        ; implicit-def: $vgpr6
	s_waitcnt vmcnt(0) lgkmcnt(0)
	v_mul_lo_u32 v4, v0, v3
	s_branch .LBB1_5
	.p2align	6
.LBB1_4:                                ;   in Loop: Header=BB1_5 Depth=1
	s_or_b32 exec_lo, exec_lo, s2
	v_add_nc_u32_e32 v5, v5, v3
	v_add_nc_u32_e32 v6, v6, v4
	s_delay_alu instid0(VALU_DEP_2) | instskip(SKIP_1) | instid1(SALU_CYCLE_1)
	v_cmp_ge_i32_e32 vcc_lo, v5, v2
	s_or_b32 s1, vcc_lo, s1
	s_and_not1_b32 exec_lo, exec_lo, s1
	s_cbranch_execz .LBB1_9
.LBB1_5:                                ; =>This Inner Loop Header: Depth=1
	ds_load_b32 v0, v6
	s_mov_b32 s2, exec_lo
	s_waitcnt lgkmcnt(0)
	v_and_b32_e32 v0, 0x1000000, v0
	s_delay_alu instid0(VALU_DEP_1)
	v_cmpx_ne_u32_e32 0, v0
	s_cbranch_execz .LBB1_4
; %bb.6:                                ;   in Loop: Header=BB1_5 Depth=1
	ds_load_b64 v[7:8], v6 offset:104
	s_waitcnt lgkmcnt(0)
	flat_load_b32 v0, v[7:8]
	s_waitcnt vmcnt(0) lgkmcnt(0)
	ds_store_b64 v6, v[0:1] offset:104
	s_branch .LBB1_4
.LBB1_7:
	s_trap 2
	s_sendmsg_rtn_b32 s0, sendmsg(MSG_RTN_GET_DOORBELL)
	s_mov_b32 ttmp2, m0
	s_waitcnt lgkmcnt(0)
	s_and_b32 s0, s0, 0x3ff
	s_delay_alu instid0(SALU_CYCLE_1) | instskip(NEXT) | instid1(SALU_CYCLE_1)
	s_bitset1_b32 s0, 10
	s_mov_b32 m0, s0
	s_sendmsg sendmsg(MSG_INTERRUPT)
	s_mov_b32 m0, ttmp2
.LBB1_8:                                ; =>This Inner Loop Header: Depth=1
	s_sethalt 5
	s_branch .LBB1_8
.LBB1_9:
	s_or_b32 exec_lo, exec_lo, s0
	s_waitcnt lgkmcnt(0)
	s_waitcnt_vscnt null, 0x0
	s_barrier
	buffer_gl0_inv
	s_cbranch_execnz .LBB1_22
; %bb.10:
	ds_load_b32 v0, v0
	s_waitcnt lgkmcnt(0)
	v_cmp_gt_i32_e32 vcc_lo, 1, v0
	s_cbranch_vccnz .LBB1_21
; %bb.11:
	s_mov_b32 s38, 0
	s_mov_b64 s[36:37], src_shared_base
.LBB1_12:                               ; =>This Inner Loop Header: Depth=1
	s_cbranch_execnz .LBB1_26
; %bb.13:                               ;   in Loop: Header=BB1_12 Depth=1
	ds_load_b32 v0, v0
	s_cmp_eq_u32 s38, 0
	s_cbranch_scc1 .LBB1_17
; %bb.14:                               ;   in Loop: Header=BB1_12 Depth=1
	s_cbranch_execnz .LBB1_30
; %bb.15:                               ;   in Loop: Header=BB1_12 Depth=1
	s_waitcnt lgkmcnt(0)
	ds_load_b32 v1, v0
	s_waitcnt lgkmcnt(0)
	v_xor_b32_e32 v1, v1, v0
	s_delay_alu instid0(VALU_DEP_1) | instskip(NEXT) | instid1(VALU_DEP_1)
	v_and_b32_e32 v1, 0xff0000, v1
	v_cmp_eq_u32_e32 vcc_lo, 0, v1
	s_cbranch_vccnz .LBB1_17
; %bb.16:                               ;   in Loop: Header=BB1_12 Depth=1
	s_waitcnt_vscnt null, 0x0
	s_barrier
	buffer_gl0_inv
	ds_load_b32 v0, v0
.LBB1_17:                               ;   in Loop: Header=BB1_12 Depth=1
	s_waitcnt lgkmcnt(0)
	v_lshrrev_b32_e32 v0, 11, v0
	s_mov_b32 s39, exec_lo
	s_delay_alu instid0(VALU_DEP_1) | instskip(NEXT) | instid1(VALU_DEP_1)
	v_and_b32_e32 v1, 0x1fe0, v0
	v_cmpx_lt_u32_e64 v166, v1
	s_cbranch_execz .LBB1_19
; %bb.18:                               ;   in Loop: Header=BB1_12 Depth=1
	v_dual_mov_b32 v0, v166 :: v_dual_mov_b32 v3, s37
	s_getpc_b64 s[0:1]
	s_add_u32 s0, s0, _ZN12_GLOBAL__N_17runRingIf10FuncMinMaxIfE7ProtoLLLi0ELi1ELi0EEEviiP15ncclDevWorkColl@rel32@lo+4
	s_addc_u32 s1, s1, _ZN12_GLOBAL__N_17runRingIf10FuncMinMaxIfE7ProtoLLLi0ELi1ELi0EEEviiP15ncclDevWorkColl@rel32@hi+12
	s_mov_b64 s[34:35], s[8:9]
	s_mov_b32 s36, s12
	s_swappc_b64 s[30:31], s[0:1]
	s_mov_b32 s12, s36
	s_mov_b64 s[8:9], s[34:35]
.LBB1_19:                               ;   in Loop: Header=BB1_12 Depth=1
	s_or_b32 exec_lo, exec_lo, s39
	s_cbranch_execnz .LBB1_28
; %bb.20:                               ;   in Loop: Header=BB1_12 Depth=1
	ds_load_b32 v0, v0
	s_add_i32 s38, s38, 1
	s_waitcnt lgkmcnt(0)
	v_cmp_lt_i32_e32 vcc_lo, s38, v0
	s_cbranch_vccnz .LBB1_12
.LBB1_21:
	v_readlane_b32 s30, v40, 6
	v_readlane_b32 s31, v40, 7
	;; [unrolled: 1-line block ×9, first 2 shown]
	s_or_saveexec_b32 s1, -1
	scratch_load_b32 v40, off, s33          ; 4-byte Folded Reload
	s_mov_b32 exec_lo, s1
	s_add_i32 s32, s32, -16
	s_mov_b32 s33, s0
	s_waitcnt vmcnt(0)
	s_setpc_b64 s[30:31]
.LBB1_22:
	s_trap 2
	s_sendmsg_rtn_b32 s0, sendmsg(MSG_RTN_GET_DOORBELL)
	s_mov_b32 ttmp2, m0
	s_waitcnt lgkmcnt(0)
	s_and_b32 s0, s0, 0x3ff
	s_delay_alu instid0(SALU_CYCLE_1) | instskip(NEXT) | instid1(SALU_CYCLE_1)
	s_bitset1_b32 s0, 10
	s_mov_b32 m0, s0
	s_sendmsg sendmsg(MSG_INTERRUPT)
	s_mov_b32 m0, ttmp2
.LBB1_23:                               ; =>This Inner Loop Header: Depth=1
	s_sethalt 5
	s_branch .LBB1_23
.LBB1_24:
	s_trap 2
	s_sendmsg_rtn_b32 s0, sendmsg(MSG_RTN_GET_DOORBELL)
	s_mov_b32 ttmp2, m0
	s_waitcnt lgkmcnt(0)
	s_and_b32 s0, s0, 0x3ff
	s_delay_alu instid0(SALU_CYCLE_1) | instskip(NEXT) | instid1(SALU_CYCLE_1)
	s_bitset1_b32 s0, 10
	s_mov_b32 m0, s0
	s_sendmsg sendmsg(MSG_INTERRUPT)
	s_mov_b32 m0, ttmp2
.LBB1_25:                               ; =>This Inner Loop Header: Depth=1
	s_sethalt 5
	s_branch .LBB1_25
.LBB1_26:
	s_trap 2
	s_sendmsg_rtn_b32 s0, sendmsg(MSG_RTN_GET_DOORBELL)
	s_mov_b32 ttmp2, m0
	s_waitcnt lgkmcnt(0)
	s_and_b32 s0, s0, 0x3ff
	s_delay_alu instid0(SALU_CYCLE_1) | instskip(NEXT) | instid1(SALU_CYCLE_1)
	s_bitset1_b32 s0, 10
	s_mov_b32 m0, s0
	s_sendmsg sendmsg(MSG_INTERRUPT)
	s_mov_b32 m0, ttmp2
.LBB1_27:                               ; =>This Inner Loop Header: Depth=1
	s_sethalt 5
	s_branch .LBB1_27
.LBB1_28:
	s_trap 2
	s_sendmsg_rtn_b32 s0, sendmsg(MSG_RTN_GET_DOORBELL)
	s_mov_b32 ttmp2, m0
	s_waitcnt lgkmcnt(0)
	s_and_b32 s0, s0, 0x3ff
	s_delay_alu instid0(SALU_CYCLE_1) | instskip(NEXT) | instid1(SALU_CYCLE_1)
	s_bitset1_b32 s0, 10
	s_mov_b32 m0, s0
	s_sendmsg sendmsg(MSG_INTERRUPT)
	s_mov_b32 m0, ttmp2
.LBB1_29:                               ; =>This Inner Loop Header: Depth=1
	s_sethalt 5
	s_branch .LBB1_29
.LBB1_30:
	s_trap 2
	s_sendmsg_rtn_b32 s0, sendmsg(MSG_RTN_GET_DOORBELL)
	s_mov_b32 ttmp2, m0
	s_waitcnt lgkmcnt(0)
	s_and_b32 s0, s0, 0x3ff
	s_delay_alu instid0(SALU_CYCLE_1) | instskip(NEXT) | instid1(SALU_CYCLE_1)
	s_bitset1_b32 s0, 10
	s_mov_b32 m0, s0
	s_sendmsg sendmsg(MSG_INTERRUPT)
	s_mov_b32 m0, ttmp2
.LBB1_31:                               ; =>This Inner Loop Header: Depth=1
	s_sethalt 5
	s_branch .LBB1_31
.Lfunc_end1:
	.size	_Z50ncclDevFunc_ReduceScatter_RING_LL_MinMax_f32_0_0_1v, .Lfunc_end1-_Z50ncclDevFunc_ReduceScatter_RING_LL_MinMax_f32_0_0_1v
                                        ; -- End function
	.section	.AMDGPU.csdata,"",@progbits
; Function info:
; codeLenInByte = 1008
; NumSgprs: 42
; NumVgprs: 167
; ScratchSize: 16
; MemoryBound: 0
	.text
	.p2align	2                               ; -- Begin function _ZN12_GLOBAL__N_17runRingIf10FuncMinMaxIfE7ProtoLLLi0ELi2ELi0EEEviiP15ncclDevWorkColl
	.type	_ZN12_GLOBAL__N_17runRingIf10FuncMinMaxIfE7ProtoLLLi0ELi2ELi0EEEviiP15ncclDevWorkColl,@function
_ZN12_GLOBAL__N_17runRingIf10FuncMinMaxIfE7ProtoLLLi0ELi2ELi0EEEviiP15ncclDevWorkColl: ; @_ZN12_GLOBAL__N_17runRingIf10FuncMinMaxIfE7ProtoLLLi0ELi2ELi0EEEviiP15ncclDevWorkColl
; %bb.0:
	s_waitcnt vmcnt(0) expcnt(0) lgkmcnt(0)
	s_cbranch_execnz .LBB2_15
; %bb.1:
	v_mov_b32_e32 v4, v0
	s_clause 0x2
	flat_load_b32 v0, v[2:3]
	flat_load_b128 v[5:8], v[2:3] offset:72
	flat_load_b64 v[19:20], v[2:3] offset:88
	s_mov_b32 s0, exec_lo
                                        ; implicit-def: $vgpr17_vgpr18
                                        ; implicit-def: $vgpr25_vgpr26
	s_waitcnt vmcnt(2) lgkmcnt(2)
	v_and_b32_e32 v11, 0xff, v0
	v_bfe_u32 v10, v0, 8, 8
	s_delay_alu instid0(VALU_DEP_2) | instskip(SKIP_3) | instid1(VALU_DEP_1)
	v_not_b32_e32 v0, v11
	ds_load_b32 v9, v0
	ds_load_b64 v[23:24], v0
	v_add_nc_u32_e32 v12, v10, v0
	v_ashrrev_i32_e32 v13, 31, v12
	s_waitcnt vmcnt(1) lgkmcnt(3)
	v_mul_lo_u32 v14, v8, v12
	v_mad_u64_u32 v[64:65], null, v7, v12, 0
	s_delay_alu instid0(VALU_DEP_3) | instskip(NEXT) | instid1(VALU_DEP_1)
	v_mul_lo_u32 v12, v7, v13
	v_add3_u32 v65, v65, v12, v14
	s_waitcnt lgkmcnt(1)
	v_readfirstlane_b32 s14, v9
	v_cmpx_ne_u32_e64 v11, v9
	s_xor_b32 s0, exec_lo, s0
	s_cbranch_execz .LBB2_7
; %bb.2:
	s_mov_b32 s1, exec_lo
                                        ; implicit-def: $vgpr17_vgpr18
                                        ; implicit-def: $vgpr25_vgpr26
	v_cmpx_ne_u32_e64 v10, v9
	s_xor_b32 s1, exec_lo, s1
	s_cbranch_execz .LBB2_4
; %bb.3:
	flat_load_b64 v[10:11], v[2:3] offset:96
	v_add_nc_u32_e32 v0, v9, v0
	s_delay_alu instid0(VALU_DEP_1) | instskip(SKIP_2) | instid1(VALU_DEP_3)
	v_ashrrev_i32_e32 v9, 31, v0
	v_mul_lo_u32 v12, v8, v0
	v_mad_u64_u32 v[25:26], null, v7, v0, v[5:6]
	v_mul_lo_u32 v9, v7, v9
	s_delay_alu instid0(VALU_DEP_1)
	v_add3_u32 v26, v12, v26, v9
	s_waitcnt vmcnt(0) lgkmcnt(0)
	v_lshrrev_b64 v[17:18], 19, v[10:11]
.LBB2_4:
	s_and_not1_saveexec_b32 s1, s1
	s_cbranch_execz .LBB2_6
; %bb.5:
	flat_load_b32 v0, v[2:3] offset:100
	v_add_co_u32 v25, vcc_lo, v64, v5
	v_add_co_ci_u32_e32 v26, vcc_lo, v65, v6, vcc_lo
	s_waitcnt vmcnt(1)
	v_dual_mov_b32 v7, v19 :: v_dual_mov_b32 v8, v20
	s_waitcnt vmcnt(0) lgkmcnt(0)
	v_lshrrev_b32_e32 v17, 8, v0
.LBB2_6:
	s_or_b32 exec_lo, exec_lo, s1
.LBB2_7:
	s_and_not1_saveexec_b32 s0, s0
	s_cbranch_execz .LBB2_9
; %bb.8:
	flat_load_b64 v[7:8], v[2:3] offset:96
	v_mov_b32_e32 v25, 0
	v_mov_b32_e32 v26, 0
	s_waitcnt vmcnt(0) lgkmcnt(0)
	v_lshlrev_b64 v[17:18], 2, v[7:8]
	v_dual_mov_b32 v8, v6 :: v_dual_mov_b32 v7, v5
.LBB2_9:
	s_or_b32 exec_lo, exec_lo, s0
	s_load_b32 s0, s[8:9], 0x0
	v_mov_b32_e32 v0, 0
	flat_load_b64 v[82:83], v[2:3] offset:104
	s_mov_b32 s2, 0
	s_waitcnt lgkmcnt(0)
	s_cmp_lt_u32 s12, s0
	s_cselect_b32 s0, 12, 18
	s_delay_alu instid0(SALU_CYCLE_1)
	s_add_u32 s0, s8, s0
	s_addc_u32 s1, s9, 0
	s_clause 0x2
	flat_load_b128 v[9:12], v[2:3] offset:16
	flat_load_u16 v14, v[2:3] offset:8
	flat_load_b32 v13, v[2:3] offset:4
	global_load_u16 v0, v0, s[0:1]
	s_cbranch_execnz .LBB2_17
; %bb.10:
	s_waitcnt vmcnt(0)
	ds_load_b32 v2, v0
	s_waitcnt lgkmcnt(1)
	v_lshrrev_b64 v[13:14], 31, v[13:14]
	s_delay_alu instid0(VALU_DEP_1)
	v_and_b32_e32 v14, 3, v13
	v_and_b32_e32 v13, 31, v4
	s_waitcnt lgkmcnt(0)
	v_cmp_gt_i32_e32 vcc_lo, 0, v2
	v_readfirstlane_b32 s1, v2
	s_cbranch_vccnz .LBB2_19
; %bb.11:
	v_cmp_eq_u32_e32 vcc_lo, 0, v13
	s_cbranch_execnz .LBB2_23
; %bb.12:
	ds_load_b64 v[15:16], v0
	v_dual_mov_b32 v3, 0 :: v_dual_and_b32 v18, 0xffff, v14
	s_mov_b32 s2, 1
	s_delay_alu instid0(VALU_DEP_1) | instskip(SKIP_1) | instid1(VALU_DEP_1)
	v_lshlrev_b64 v[2:3], 3, v[2:3]
	s_waitcnt lgkmcnt(0)
	v_add_co_u32 v2, s0, v15, v2
	s_delay_alu instid0(VALU_DEP_1)
	v_add_co_ci_u32_e64 v3, s0, v16, v3, s0
	flat_load_b64 v[2:3], v[2:3]
	s_waitcnt vmcnt(0) lgkmcnt(0)
	v_mad_u64_u32 v[15:16], null, 0xa8, v18, v[2:3]
	s_clause 0x1
	flat_load_b64 v[29:30], v[15:16] offset:504
	flat_load_b64 v[32:33], v[15:16] offset:608
	v_add_co_u32 v2, s0, 0x1f8, v15
	s_delay_alu instid0(VALU_DEP_1) | instskip(NEXT) | instid1(VALU_DEP_1)
	v_add_co_ci_u32_e64 v3, s0, 0, v16, s0
	v_dual_cndmask_b32 v27, 0, v2 :: v_dual_cndmask_b32 v28, 0, v3
	s_cbranch_execz .LBB2_20
.LBB2_13:
	s_trap 2
	s_sendmsg_rtn_b32 s0, sendmsg(MSG_RTN_GET_DOORBELL)
	s_mov_b32 ttmp2, m0
	s_waitcnt lgkmcnt(0)
	s_and_b32 s0, s0, 0x3ff
	s_delay_alu instid0(SALU_CYCLE_1) | instskip(NEXT) | instid1(SALU_CYCLE_1)
	s_bitset1_b32 s0, 10
	s_mov_b32 m0, s0
	s_sendmsg sendmsg(MSG_INTERRUPT)
	s_mov_b32 m0, ttmp2
.LBB2_14:                               ; =>This Inner Loop Header: Depth=1
	s_sethalt 5
	s_branch .LBB2_14
.LBB2_15:
	s_trap 2
	s_sendmsg_rtn_b32 s0, sendmsg(MSG_RTN_GET_DOORBELL)
	s_mov_b32 ttmp2, m0
	s_waitcnt lgkmcnt(0)
	s_and_b32 s0, s0, 0x3ff
	s_delay_alu instid0(SALU_CYCLE_1) | instskip(NEXT) | instid1(SALU_CYCLE_1)
	s_bitset1_b32 s0, 10
	s_mov_b32 m0, s0
	s_sendmsg sendmsg(MSG_INTERRUPT)
	s_mov_b32 m0, ttmp2
.LBB2_16:                               ; =>This Inner Loop Header: Depth=1
	s_sethalt 5
	s_branch .LBB2_16
.LBB2_17:
	s_trap 2
	s_sendmsg_rtn_b32 s0, sendmsg(MSG_RTN_GET_DOORBELL)
	s_mov_b32 ttmp2, m0
	s_waitcnt lgkmcnt(0)
	s_and_b32 s0, s0, 0x3ff
	s_delay_alu instid0(SALU_CYCLE_1) | instskip(NEXT) | instid1(SALU_CYCLE_1)
	s_bitset1_b32 s0, 10
	s_mov_b32 m0, s0
	s_sendmsg sendmsg(MSG_INTERRUPT)
	s_mov_b32 m0, ttmp2
.LBB2_18:                               ; =>This Inner Loop Header: Depth=1
	s_sethalt 5
	s_branch .LBB2_18
.LBB2_19:
	v_mov_b32_e32 v27, 0
	v_mov_b32_e32 v28, 0
                                        ; implicit-def: $vgpr32_vgpr33
                                        ; implicit-def: $vgpr29_vgpr30
	s_cbranch_execnz .LBB2_13
.LBB2_20:
	ds_load_b32 v2, v0
	v_mov_b32_e32 v36, 0
	v_mov_b32_e32 v37, 0
	s_waitcnt lgkmcnt(0)
	v_cmp_gt_i32_e32 vcc_lo, 0, v2
	s_cbranch_vccnz .LBB2_25
; %bb.21:
	s_cbranch_execnz .LBB2_235
; %bb.22:
	ds_load_b64 v[15:16], v0
	v_mov_b32_e32 v3, 0
	s_delay_alu instid0(VALU_DEP_1) | instskip(SKIP_1) | instid1(VALU_DEP_1)
	v_lshlrev_b64 v[2:3], 3, v[2:3]
	s_waitcnt lgkmcnt(0)
	v_add_co_u32 v2, vcc_lo, v15, v2
	s_delay_alu instid0(VALU_DEP_2)
	v_add_co_ci_u32_e32 v3, vcc_lo, v16, v3, vcc_lo
	v_and_b32_e32 v16, 0xffff, v14
	v_cmp_eq_u32_e32 vcc_lo, 0, v13
	flat_load_b64 v[2:3], v[2:3]
	s_waitcnt vmcnt(0) lgkmcnt(0)
	v_mad_u64_u32 v[14:15], null, 0xa8, v16, v[2:3]
	s_clause 0x1
	flat_load_b64 v[38:39], v[14:15]
	flat_load_b64 v[21:22], v[14:15] offset:104
	v_dual_cndmask_b32 v35, 0, v15 :: v_dual_cndmask_b32 v34, 0, v14
	s_branch .LBB2_26
.LBB2_23:
	s_trap 2
	s_sendmsg_rtn_b32 s0, sendmsg(MSG_RTN_GET_DOORBELL)
	s_mov_b32 ttmp2, m0
	s_waitcnt lgkmcnt(0)
	s_and_b32 s0, s0, 0x3ff
	s_delay_alu instid0(SALU_CYCLE_1) | instskip(NEXT) | instid1(SALU_CYCLE_1)
	s_bitset1_b32 s0, 10
	s_mov_b32 m0, s0
	s_sendmsg sendmsg(MSG_INTERRUPT)
	s_mov_b32 m0, ttmp2
.LBB2_24:                               ; =>This Inner Loop Header: Depth=1
	s_sethalt 5
	s_branch .LBB2_24
.LBB2_25:
	s_delay_alu instid0(VALU_DEP_2)
	v_dual_mov_b32 v34, v36 :: v_dual_mov_b32 v35, v37
                                        ; implicit-def: $vgpr21_vgpr22
                                        ; implicit-def: $vgpr38_vgpr39
.LBB2_26:
	v_subrev_nc_u32_e32 v2, 32, v1
	v_cmp_gt_u32_e64 s0, s2, v13
                                        ; implicit-def: $vgpr48_vgpr49
	s_delay_alu instid0(VALU_DEP_2) | instskip(NEXT) | instid1(VALU_DEP_2)
	v_cmp_le_i32_e32 vcc_lo, v2, v4
	s_and_b32 s13, vcc_lo, s0
	s_delay_alu instid0(SALU_CYCLE_1)
	s_and_saveexec_b32 s0, s13
; %bb.27:
	s_clause 0x1
	flat_load_b64 v[36:37], v[27:28] offset:56
	flat_load_b64 v[48:49], v[27:28] offset:104
; %bb.28:
	s_or_b32 exec_lo, exec_lo, s0
	v_mov_b32_e32 v2, 0
	v_mov_b32_e32 v3, 0
	v_cmp_gt_i32_e64 s0, s2, v4
                                        ; implicit-def: $vgpr52_vgpr53
	s_delay_alu instid0(VALU_DEP_2) | instskip(SKIP_1) | instid1(VALU_DEP_3)
	v_dual_mov_b32 v14, v3 :: v_dual_mov_b32 v13, v2
	v_dual_mov_b32 v51, v3 :: v_dual_mov_b32 v50, v2
	s_and_saveexec_b32 s2, s0
	s_cbranch_execz .LBB2_30
; %bb.29:
	flat_load_b64 v[50:51], v[34:35] offset:56
	s_waitcnt vmcnt(0) lgkmcnt(0)
	flat_load_b64 v[52:53], v[50:51] glc dlc
	s_waitcnt vmcnt(0)
	flat_load_b128 v[13:16], v[34:35] offset:96
.LBB2_30:
	s_or_b32 exec_lo, exec_lo, s2
	v_and_b32_e32 v0, 0xffff, v0
	s_mov_b32 s16, exec_lo
	v_cmpx_ne_u64_e32 0, v[7:8]
	s_cbranch_execz .LBB2_223
; %bb.31:
	v_add_co_u32 v2, vcc_lo, v19, v5
	s_ashr_i32 s2, s1, 31
	v_add_co_ci_u32_e32 v3, vcc_lo, v20, v6, vcc_lo
	s_delay_alu instid0(VALU_DEP_2)
	v_add_co_u32 v64, vcc_lo, v2, v64
	v_ashrrev_i32_e32 v2, 31, v1
	s_lshr_b32 s2, s2, 29
	s_ashr_i32 s15, s14, 31
	s_add_i32 s1, s1, s2
	s_lshl_b64 s[2:3], s[14:15], 2
	v_add_co_ci_u32_e32 v65, vcc_lo, v3, v65, vcc_lo
	v_add_co_u32 v3, vcc_lo, v23, s2
	v_lshrrev_b32_e32 v6, 27, v2
	v_add_co_ci_u32_e32 v5, vcc_lo, s3, v24, vcc_lo
	v_mov_b32_e32 v118, 0
	s_delay_alu instid0(VALU_DEP_4) | instskip(NEXT) | instid1(VALU_DEP_4)
	v_add_co_u32 v66, vcc_lo, v3, -4
	v_add_nc_u32_e32 v3, v1, v6
	s_delay_alu instid0(VALU_DEP_3) | instskip(SKIP_2) | instid1(VALU_DEP_3)
	v_dual_mov_b32 v83, v118 :: v_dual_lshlrev_b32 v68, 1, v4
	v_dual_mov_b32 v19, v118 :: v_dual_lshlrev_b32 v70, 1, v1
	v_add_co_ci_u32_e32 v67, vcc_lo, -1, v5, vcc_lo
	v_ashrrev_i32_e32 v69, 31, v68
	v_and_b32_e32 v5, 31, v31
	s_delay_alu instid0(VALU_DEP_4)
	v_ashrrev_i32_e32 v71, 31, v70
	v_and_b32_e32 v18, 1, v82
	v_and_b32_e32 v82, 3, v9
	v_lshlrev_b64 v[80:81], 2, v[68:69]
	v_ashrrev_i32_e32 v119, 5, v3
	v_lshlrev_b64 v[86:87], 2, v[70:71]
	v_mov_b32_e32 v71, 1
	v_cmp_eq_u64_e64 s8, 0, v[82:83]
	v_mov_b32_e32 v82, 0
	v_cmp_eq_u32_e64 s5, 0, v5
	v_ashrrev_i32_e32 v5, 31, v4
	v_add_co_u32 v128, vcc_lo, v11, v80
	v_add_co_ci_u32_e32 v129, vcc_lo, v12, v81, vcc_lo
	s_delay_alu instid0(VALU_DEP_3) | instskip(SKIP_4) | instid1(VALU_DEP_4)
	v_lshlrev_b64 v[5:6], 4, v[4:5]
	v_add_co_u32 v130, vcc_lo, v9, v80
	v_add_co_ci_u32_e32 v131, vcc_lo, v10, v81, vcc_lo
	v_lshlrev_b64 v[9:10], 2, v[25:26]
	s_waitcnt vmcnt(1) lgkmcnt(1)
	v_add_co_u32 v132, vcc_lo, v38, v5
	v_add_co_ci_u32_e32 v133, vcc_lo, v39, v6, vcc_lo
	v_lshlrev_b64 v[5:6], 4, v[1:2]
	s_delay_alu instid0(VALU_DEP_4)
	v_add_co_u32 v2, vcc_lo, v9, v80
	v_add_co_ci_u32_e32 v3, vcc_lo, v10, v81, vcc_lo
	v_dual_mov_b32 v55, v118 :: v_dual_and_b32 v54, 0x7ffffc, v17
	v_mov_b32_e32 v83, 0
	v_lshlrev_b32_e32 v17, 2, v17
	v_add_co_u32 v9, vcc_lo, v11, v2
	s_ashr_i32 s4, s1, 3
	s_ashr_i32 s17, s1, 7
	v_cmp_ne_u64_e64 s1, 0, v[50:51]
	s_waitcnt vmcnt(0) lgkmcnt(0)
	v_cmp_ne_u64_e64 s2, 0, v[13:14]
	v_cmp_ne_u64_e64 s7, 0, v[36:37]
	v_cmp_eq_u64_e64 s9, 0, v[18:19]
	v_add_co_ci_u32_e32 v10, vcc_lo, v12, v3, vcc_lo
	v_mov_b32_e32 v2, v82
	v_lshlrev_b64 v[84:85], 2, v[64:65]
	s_and_b32 s15, s4, -16
	v_cmp_ne_u32_e64 s3, 32, v1
	v_cmp_ne_u32_e64 s4, v0, v1
	v_ashrrev_i32_e32 v69, 31, v119
	v_cmp_eq_u32_e64 s6, 1, v18
	v_dual_mov_b32 v135, 0 :: v_dual_and_b32 v134, 0x1fffff0, v17
	v_mov_b32_e32 v3, v83
	s_cmp_gt_i32 s14, 2
	s_mov_b32 s18, 0
	s_cselect_b32 s19, -1, 0
.LBB2_32:                               ; =>This Loop Header: Depth=1
                                        ;     Child Loop BB2_39 Depth 2
                                        ;     Child Loop BB2_59 Depth 2
	;; [unrolled: 1-line block ×5, first 2 shown]
                                        ;       Child Loop BB2_90 Depth 3
                                        ;       Child Loop BB2_110 Depth 3
	;; [unrolled: 1-line block ×3, first 2 shown]
                                        ;         Child Loop BB2_134 Depth 4
                                        ;       Child Loop BB2_152 Depth 3
                                        ;       Child Loop BB2_169 Depth 3
                                        ;     Child Loop BB2_174 Depth 2
                                        ;       Child Loop BB2_180 Depth 3
                                        ;     Child Loop BB2_206 Depth 2
	s_waitcnt vmcnt(0) lgkmcnt(0)
	flat_load_b32 v19, v[66:67]
	v_sub_co_u32 v17, vcc_lo, v7, v82
	v_sub_co_ci_u32_e32 v18, vcc_lo, v8, v83, vcc_lo
	s_delay_alu instid0(VALU_DEP_1) | instskip(SKIP_1) | instid1(VALU_DEP_1)
	v_cmp_lt_u64_e32 vcc_lo, v[54:55], v[17:18]
	v_cndmask_b32_e32 v20, v17, v54, vcc_lo
	v_lshl_add_u32 v17, v20, 3, 8
	s_delay_alu instid0(VALU_DEP_1)
	v_and_b32_e32 v145, 0x7fffff0, v17
	s_and_saveexec_b32 s10, s1
	s_cbranch_execz .LBB2_50
; %bb.33:                               ;   in Loop: Header=BB2_32 Depth=1
	v_add_co_u32 v17, vcc_lo, v15, 1
	v_add_co_ci_u32_e32 v18, vcc_lo, 0, v16, vcc_lo
	v_add_co_u32 v96, vcc_lo, v52, 8
	v_add_co_ci_u32_e32 v97, vcc_lo, 0, v53, vcc_lo
	s_mov_b32 s11, exec_lo
	s_delay_alu instid0(VALU_DEP_1)
	v_cmpx_lt_u64_e64 v[96:97], v[17:18]
	s_cbranch_execz .LBB2_47
; %bb.34:                               ;   in Loop: Header=BB2_32 Depth=1
	s_sleep 1
	flat_load_b64 v[52:53], v[50:51] glc
	v_cmp_eq_u32_e32 vcc_lo, 0, v135
	s_and_saveexec_b32 s12, vcc_lo
	s_cbranch_execz .LBB2_46
; %bb.35:                               ;   in Loop: Header=BB2_32 Depth=1
	v_cndmask_b32_e64 v16, 0, 1, vcc_lo
	s_mov_b32 s20, 0
                                        ; implicit-def: $sgpr21
	s_branch .LBB2_39
.LBB2_36:                               ;   in Loop: Header=BB2_39 Depth=2
	s_or_b32 exec_lo, exec_lo, s24
	s_delay_alu instid0(SALU_CYCLE_1)
	s_or_not1_b32 s24, s25, exec_lo
.LBB2_37:                               ;   in Loop: Header=BB2_39 Depth=2
	s_or_b32 exec_lo, exec_lo, s23
	s_xor_b32 s23, s24, -1
	s_and_not1_b32 s21, s21, exec_lo
	s_and_b32 s23, s23, exec_lo
	s_delay_alu instid0(SALU_CYCLE_1)
	s_or_b32 s21, s21, s23
.LBB2_38:                               ;   in Loop: Header=BB2_39 Depth=2
	s_or_b32 exec_lo, exec_lo, s22
	s_delay_alu instid0(SALU_CYCLE_1) | instskip(NEXT) | instid1(SALU_CYCLE_1)
	s_and_b32 s22, exec_lo, s21
	s_or_b32 s20, s22, s20
	s_delay_alu instid0(SALU_CYCLE_1)
	s_and_not1_b32 exec_lo, exec_lo, s20
	s_cbranch_execz .LBB2_45
.LBB2_39:                               ;   Parent Loop BB2_32 Depth=1
                                        ; =>  This Inner Loop Header: Depth=2
	s_waitcnt vmcnt(0) lgkmcnt(0)
	v_add_co_u32 v96, vcc_lo, v52, 8
	v_add_co_ci_u32_e32 v97, vcc_lo, 0, v53, vcc_lo
	v_mov_b32_e32 v135, 0
	s_or_b32 s21, s21, exec_lo
	s_mov_b32 s22, exec_lo
	s_delay_alu instid0(VALU_DEP_2)
	v_cmpx_lt_u64_e64 v[96:97], v[17:18]
	s_cbranch_execz .LBB2_38
; %bb.40:                               ;   in Loop: Header=BB2_39 Depth=2
	s_sleep 1
	flat_load_b64 v[52:53], v[50:51] glc
	v_dual_mov_b32 v135, 0 :: v_dual_add_nc_u32 v16, 1, v16
	s_mov_b32 s24, -1
	s_mov_b32 s23, exec_lo
	s_delay_alu instid0(VALU_DEP_1)
	v_cmpx_eq_u32_e32 0x2710, v16
	s_cbranch_execz .LBB2_37
; %bb.41:                               ;   in Loop: Header=BB2_39 Depth=2
	s_cbranch_execnz .LBB2_241
; %bb.42:                               ;   in Loop: Header=BB2_39 Depth=2
	ds_load_b64 v[96:97], v0
	v_dual_mov_b32 v16, 0 :: v_dual_mov_b32 v135, 0
	s_mov_b32 s25, -1
	s_mov_b32 s24, exec_lo
	s_waitcnt vmcnt(0) lgkmcnt(0)
	s_waitcnt_vscnt null, 0x0
	flat_load_b32 v96, v[96:97] glc
	s_waitcnt vmcnt(0) lgkmcnt(0)
	buffer_gl1_inv
	buffer_gl0_inv
	v_cmpx_ne_u32_e32 0, v96
	s_cbranch_execz .LBB2_36
; %bb.43:                               ;   in Loop: Header=BB2_39 Depth=2
	ds_store_b32 v0, v96
	s_cbranch_execnz .LBB2_266
; %bb.44:                               ;   in Loop: Header=BB2_39 Depth=2
	v_mov_b32_e32 v135, 1
	s_xor_b32 s25, exec_lo, -1
	s_branch .LBB2_36
.LBB2_45:                               ;   in Loop: Header=BB2_32 Depth=1
	s_or_b32 exec_lo, exec_lo, s20
.LBB2_46:                               ;   in Loop: Header=BB2_32 Depth=1
	s_delay_alu instid0(SALU_CYCLE_1)
	s_or_b32 exec_lo, exec_lo, s12
.LBB2_47:                               ;   in Loop: Header=BB2_32 Depth=1
	s_delay_alu instid0(SALU_CYCLE_1)
	s_or_b32 exec_lo, exec_lo, s11
	s_and_saveexec_b32 s11, s2
	s_cbranch_execz .LBB2_49
; %bb.48:                               ;   in Loop: Header=BB2_32 Depth=1
	v_dual_mov_b32 v97, v118 :: v_dual_and_b32 v96, 0x7ffffff8, v15
	v_and_b32_e32 v16, 7, v15
	s_delay_alu instid0(VALU_DEP_2) | instskip(NEXT) | instid1(VALU_DEP_2)
	v_cmp_eq_u64_e32 vcc_lo, 0x7ffffff8, v[96:97]
	v_mad_u64_u32 v[96:97], null, v16, 24, v[13:14]
	v_cndmask_b32_e64 v15, v145, s15, vcc_lo
	s_delay_alu instid0(VALU_DEP_1)
	v_ashrrev_i32_e32 v16, 31, v15
	flat_store_b64 v[96:97], v[15:16] offset:8 dlc
	s_waitcnt_vscnt null, 0x0
.LBB2_49:                               ;   in Loop: Header=BB2_32 Depth=1
	s_or_b32 exec_lo, exec_lo, s11
	v_dual_mov_b32 v15, v17 :: v_dual_mov_b32 v16, v18
.LBB2_50:                               ;   in Loop: Header=BB2_32 Depth=1
	s_or_b32 exec_lo, exec_lo, s10
	s_and_saveexec_b32 s10, s3
	s_cbranch_execz .LBB2_72
; %bb.51:                               ;   in Loop: Header=BB2_32 Depth=1
	s_and_saveexec_b32 s11, s4
	s_delay_alu instid0(SALU_CYCLE_1)
	s_xor_b32 s11, exec_lo, s11
	s_cbranch_execz .LBB2_69
; %bb.52:                               ;   in Loop: Header=BB2_32 Depth=1
	s_and_saveexec_b32 s12, s5
	s_cbranch_execz .LBB2_68
; %bb.53:                               ;   in Loop: Header=BB2_32 Depth=1
	s_mov_b32 s21, exec_lo
	s_mov_b32 s20, exec_lo
	v_mbcnt_lo_u32_b32 v17, s21, 0
	s_waitcnt vmcnt(0) lgkmcnt(0)
	s_waitcnt_vscnt null, 0x0
	buffer_gl1_inv
	buffer_gl0_inv
	v_cmpx_eq_u32_e32 0, v17
	s_cbranch_execz .LBB2_55
; %bb.54:                               ;   in Loop: Header=BB2_32 Depth=1
	s_bcnt1_i32_b32 s21, s21
	s_delay_alu instid0(SALU_CYCLE_1)
	v_dual_mov_b32 v18, v118 :: v_dual_mov_b32 v17, s21
	ds_add_u64 v0, v[17:18]
	s_cbranch_execnz .LBB2_260
.LBB2_55:                               ;   in Loop: Header=BB2_32 Depth=1
	s_or_b32 exec_lo, exec_lo, s20
	s_cbranch_execnz .LBB2_247
; %bb.56:                               ;   in Loop: Header=BB2_32 Depth=1
	ds_load_b64 v[17:18], v0
	v_add_co_u32 v2, vcc_lo, v2, v119
	v_add_co_ci_u32_e32 v3, vcc_lo, v3, v69, vcc_lo
	s_mov_b32 s20, exec_lo
	s_waitcnt lgkmcnt(0)
	s_delay_alu instid0(VALU_DEP_1)
	v_cmpx_lt_u64_e64 v[17:18], v[2:3]
	s_cbranch_execz .LBB2_67
; %bb.57:                               ;   in Loop: Header=BB2_32 Depth=1
	s_mov_b32 s21, 0
	s_mov_b32 s24, 0
                                        ; implicit-def: $sgpr22
                                        ; implicit-def: $sgpr23
	s_branch .LBB2_59
.LBB2_58:                               ;   in Loop: Header=BB2_59 Depth=2
	s_or_b32 exec_lo, exec_lo, s27
	s_delay_alu instid0(SALU_CYCLE_1) | instskip(NEXT) | instid1(SALU_CYCLE_1)
	s_and_b32 s25, exec_lo, s26
	s_or_b32 s21, s25, s21
	s_and_not1_b32 s22, s22, exec_lo
	s_and_b32 s25, s23, exec_lo
	s_delay_alu instid0(SALU_CYCLE_1)
	s_or_b32 s22, s22, s25
	s_and_not1_b32 exec_lo, exec_lo, s21
	s_cbranch_execz .LBB2_65
.LBB2_59:                               ;   Parent Loop BB2_32 Depth=1
                                        ; =>  This Inner Loop Header: Depth=2
	s_add_i32 s24, s24, 1
                                        ; implicit-def: $sgpr26
	s_delay_alu instid0(SALU_CYCLE_1) | instskip(SKIP_1) | instid1(SALU_CYCLE_1)
	s_cmpk_lg_i32 s24, 0x2710
	s_cselect_b32 s25, -1, 0
	s_and_b32 vcc_lo, exec_lo, s25
	s_cbranch_vccz .LBB2_63
.LBB2_60:                               ;   in Loop: Header=BB2_59 Depth=2
	s_and_not1_b32 s23, s23, exec_lo
	s_and_b32 s27, s26, exec_lo
	s_mov_b32 s26, -1
	s_or_b32 s23, s23, s27
	s_and_saveexec_b32 s27, s25
	s_cbranch_execz .LBB2_58
; %bb.61:                               ;   in Loop: Header=BB2_59 Depth=2
	s_sleep 1
	s_cbranch_execnz .LBB2_274
; %bb.62:                               ;   in Loop: Header=BB2_59 Depth=2
	ds_load_b64 v[17:18], v0
	s_and_not1_b32 s23, s23, exec_lo
	s_waitcnt lgkmcnt(0)
	v_cmp_ge_u64_e32 vcc_lo, v[17:18], v[2:3]
	s_or_not1_b32 s26, vcc_lo, exec_lo
	s_branch .LBB2_58
.LBB2_63:                               ;   in Loop: Header=BB2_59 Depth=2
	s_cbranch_execnz .LBB2_282
; %bb.64:                               ;   in Loop: Header=BB2_59 Depth=2
	ds_load_b64 v[17:18], v0
	s_and_not1_b32 s25, s25, exec_lo
	s_mov_b32 s24, 0
	s_mov_b32 s26, -1
	s_waitcnt lgkmcnt(0)
	flat_load_b32 v17, v[17:18] glc
	s_waitcnt vmcnt(0) lgkmcnt(0)
	buffer_gl1_inv
	buffer_gl0_inv
	v_cmp_eq_u32_e32 vcc_lo, 0, v17
	s_and_b32 s27, vcc_lo, exec_lo
	s_delay_alu instid0(SALU_CYCLE_1)
	s_or_b32 s25, s25, s27
	s_branch .LBB2_60
.LBB2_65:                               ;   in Loop: Header=BB2_32 Depth=1
	s_or_b32 exec_lo, exec_lo, s21
	s_and_saveexec_b32 s21, s22
	s_delay_alu instid0(SALU_CYCLE_1)
	s_xor_b32 s21, exec_lo, s21
	s_cbranch_execz .LBB2_67
; %bb.66:                               ;   in Loop: Header=BB2_32 Depth=1
	ds_store_b32 v0, v71
	s_cbranch_execnz .LBB2_307
.LBB2_67:                               ;   in Loop: Header=BB2_32 Depth=1
	s_or_b32 exec_lo, exec_lo, s20
	;;#ASMSTART
	s_wakeup
	;;#ASMEND
.LBB2_68:                               ;   in Loop: Header=BB2_32 Depth=1
	s_or_b32 exec_lo, exec_lo, s12
.LBB2_69:                               ;   in Loop: Header=BB2_32 Depth=1
	s_and_not1_saveexec_b32 s11, s11
	s_cbranch_execz .LBB2_71
; %bb.70:                               ;   in Loop: Header=BB2_32 Depth=1
	s_waitcnt vmcnt(0) lgkmcnt(0)
	s_waitcnt_vscnt null, 0x0
	buffer_gl1_inv
	buffer_gl0_inv
	s_barrier
.LBB2_71:                               ;   in Loop: Header=BB2_32 Depth=1
	s_or_b32 exec_lo, exec_lo, s11
.LBB2_72:                               ;   in Loop: Header=BB2_32 Depth=1
	s_delay_alu instid0(SALU_CYCLE_1) | instskip(SKIP_2) | instid1(VALU_DEP_2)
	s_or_b32 exec_lo, exec_lo, s10
	v_sub_nc_u32_e32 v144, v20, v68
	v_mov_b32_e32 v96, v4
	v_cmp_lt_i32_e64 s10, 0, v144
	s_delay_alu instid0(VALU_DEP_1)
	s_and_saveexec_b32 s12, s10
	s_cbranch_execz .LBB2_78
; %bb.73:                               ;   in Loop: Header=BB2_32 Depth=1
	v_dual_mov_b32 v100, v21 :: v_dual_and_b32 v17, 7, v21
	s_waitcnt vmcnt(0) lgkmcnt(0)
	v_ashrrev_i32_e32 v20, 31, v19
	v_mad_u64_u32 v[97:98], null, v84, v19, v[9:10]
	s_delay_alu instid0(VALU_DEP_3) | instskip(SKIP_1) | instid1(VALU_DEP_4)
	v_mul_lo_u32 v17, v17, s17
	v_mul_lo_u32 v96, v85, v19
	v_mul_lo_u32 v99, v84, v20
	v_add_co_u32 v112, vcc_lo, 0, 0
	v_mov_b32_e32 v103, v144
	s_mov_b32 s20, 0
                                        ; implicit-def: $vgpr101_vgpr102
	v_ashrrev_i32_e32 v18, 31, v17
	s_delay_alu instid0(VALU_DEP_4) | instskip(SKIP_1) | instid1(VALU_DEP_3)
	v_add3_u32 v98, v96, v98, v99
	v_mov_b32_e32 v96, v4
	v_lshlrev_b64 v[19:20], 4, v[17:18]
	v_add_co_ci_u32_e32 v18, vcc_lo, 1, v100, vcc_lo
	s_delay_alu instid0(VALU_DEP_2) | instskip(NEXT) | instid1(VALU_DEP_3)
	v_add_co_u32 v99, vcc_lo, v132, v19
	v_add_co_ci_u32_e32 v100, vcc_lo, v133, v20, vcc_lo
	s_set_inst_prefetch_distance 0x1
	s_branch .LBB2_75
	.p2align	6
.LBB2_74:                               ;   in Loop: Header=BB2_75 Depth=2
	s_or_b32 exec_lo, exec_lo, s11
	s_waitcnt vmcnt(0) lgkmcnt(0)
	v_dual_mov_b32 v19, v102 :: v_dual_add_nc_u32 v96, v96, v1
	v_or_b32_e32 v17, v112, v17
	v_mov_b32_e32 v20, v18
	v_sub_nc_u32_e32 v103, v103, v70
	s_delay_alu instid0(VALU_DEP_4) | instskip(SKIP_1) | instid1(VALU_DEP_1)
	v_or_b32_e32 v19, v19, v112
	v_add_co_u32 v97, s11, v97, v86
	v_add_co_ci_u32_e64 v98, s11, v98, v87, s11
	global_store_b128 v[99:100], v[17:20], off
	v_add_co_u32 v99, vcc_lo, v99, v5
	v_add_co_ci_u32_e32 v100, vcc_lo, v100, v6, vcc_lo
	v_cmp_gt_i32_e32 vcc_lo, 1, v103
	s_or_b32 s20, vcc_lo, s20
	s_delay_alu instid0(SALU_CYCLE_1)
	s_and_not1_b32 exec_lo, exec_lo, s20
	s_cbranch_execz .LBB2_77
.LBB2_75:                               ;   Parent Loop BB2_32 Depth=1
                                        ; =>  This Inner Loop Header: Depth=2
	flat_load_b32 v17, v[97:98] glc
	s_mov_b32 s11, exec_lo
	v_cmpx_ne_u32_e32 1, v103
	s_cbranch_execz .LBB2_74
; %bb.76:                               ;   in Loop: Header=BB2_75 Depth=2
	flat_load_b32 v102, v[97:98] offset:4 glc
	s_branch .LBB2_74
.LBB2_77:                               ;   in Loop: Header=BB2_32 Depth=1
	s_set_inst_prefetch_distance 0x2
	s_or_b32 exec_lo, exec_lo, s20
.LBB2_78:                               ;   in Loop: Header=BB2_32 Depth=1
	s_delay_alu instid0(SALU_CYCLE_1) | instskip(SKIP_2) | instid1(VALU_DEP_2)
	s_or_b32 exec_lo, exec_lo, s12
	v_dual_mov_b32 v18, v118 :: v_dual_and_b32 v17, 0x7ffffff8, v21
	v_cmp_gt_i32_e64 s11, s17, v96
	v_cmp_eq_u64_e32 vcc_lo, 0x7ffffff8, v[17:18]
	s_delay_alu instid0(VALU_DEP_2) | instskip(NEXT) | instid1(SALU_CYCLE_1)
	s_and_b32 s11, vcc_lo, s11
	s_and_saveexec_b32 s12, s11
	s_cbranch_execz .LBB2_81
; %bb.79:                               ;   in Loop: Header=BB2_32 Depth=1
	v_and_b32_e32 v17, 7, v21
	v_ashrrev_i32_e32 v97, 31, v96
	s_mov_b32 s20, 0
	s_delay_alu instid0(VALU_DEP_2) | instskip(SKIP_1) | instid1(VALU_DEP_2)
	v_mul_lo_u32 v17, v17, s17
	s_waitcnt vmcnt(0) lgkmcnt(0)
	v_lshlrev_b64 v[19:20], 4, v[96:97]
	v_mov_b32_e32 v97, v21
	s_delay_alu instid0(VALU_DEP_3) | instskip(NEXT) | instid1(VALU_DEP_1)
	v_ashrrev_i32_e32 v18, 31, v17
	v_lshlrev_b64 v[17:18], 4, v[17:18]
	s_delay_alu instid0(VALU_DEP_1) | instskip(NEXT) | instid1(VALU_DEP_2)
	v_add_co_u32 v19, vcc_lo, v19, v17
	v_add_co_ci_u32_e32 v20, vcc_lo, v20, v18, vcc_lo
	v_add_co_u32 v17, vcc_lo, 0, 0
	v_add_co_ci_u32_e32 v18, vcc_lo, 1, v97, vcc_lo
	s_delay_alu instid0(VALU_DEP_4) | instskip(NEXT) | instid1(VALU_DEP_4)
	v_add_co_u32 v97, vcc_lo, v38, v19
	v_add_co_ci_u32_e32 v98, vcc_lo, v39, v20, vcc_lo
.LBB2_80:                               ;   Parent Loop BB2_32 Depth=1
                                        ; =>  This Inner Loop Header: Depth=2
	s_delay_alu instid0(VALU_DEP_4) | instskip(NEXT) | instid1(VALU_DEP_4)
	v_dual_mov_b32 v19, v17 :: v_dual_add_nc_u32 v96, v96, v1
	v_mov_b32_e32 v20, v18
	s_delay_alu instid0(VALU_DEP_2) | instskip(SKIP_2) | instid1(VALU_DEP_1)
	v_cmp_le_i32_e32 vcc_lo, s17, v96
	global_store_b128 v[97:98], v[17:20], off
	v_add_co_u32 v97, s11, v97, v5
	v_add_co_ci_u32_e64 v98, s11, v98, v6, s11
	s_or_b32 s20, vcc_lo, s20
	s_delay_alu instid0(SALU_CYCLE_1)
	s_and_not1_b32 exec_lo, exec_lo, s20
	s_cbranch_execnz .LBB2_80
.LBB2_81:                               ;   in Loop: Header=BB2_32 Depth=1
	s_or_b32 exec_lo, exec_lo, s12
	v_add_co_u32 v96, vcc_lo, v82, v25
	v_add_co_ci_u32_e32 v97, vcc_lo, v83, v26, vcc_lo
	v_add_co_u32 v98, vcc_lo, v21, 1
	v_add_co_ci_u32_e32 v99, vcc_lo, 0, v22, vcc_lo
	s_and_not1_b32 vcc_lo, exec_lo, s19
	s_cbranch_vccnz .LBB2_171
; %bb.82:                               ;   in Loop: Header=BB2_32 Depth=1
	v_lshlrev_b64 v[17:18], 2, v[96:97]
	v_add_nc_u16 v148, v21, 1
	s_mov_b32 s20, 2
	s_delay_alu instid0(VALU_DEP_2) | instskip(NEXT) | instid1(VALU_DEP_3)
	v_add_co_u32 v146, vcc_lo, v128, v17
	v_add_co_ci_u32_e32 v147, vcc_lo, v129, v18, vcc_lo
.LBB2_83:                               ;   Parent Loop BB2_32 Depth=1
                                        ; =>  This Loop Header: Depth=2
                                        ;       Child Loop BB2_90 Depth 3
                                        ;       Child Loop BB2_110 Depth 3
	;; [unrolled: 1-line block ×3, first 2 shown]
                                        ;         Child Loop BB2_134 Depth 4
                                        ;       Child Loop BB2_152 Depth 3
                                        ;       Child Loop BB2_169 Depth 3
	s_sub_i32 s22, s14, s20
	s_delay_alu instid0(SALU_CYCLE_1) | instskip(NEXT) | instid1(SALU_CYCLE_1)
	s_ashr_i32 s23, s22, 31
	s_lshl_b64 s[22:23], s[22:23], 2
	s_delay_alu instid0(SALU_CYCLE_1)
	v_add_co_u32 v17, vcc_lo, v23, s22
	v_add_co_ci_u32_e32 v18, vcc_lo, s23, v24, vcc_lo
	s_waitcnt vmcnt(0) lgkmcnt(0)
	flat_load_b32 v19, v[17:18]
	s_and_saveexec_b32 s11, s1
	s_cbranch_execz .LBB2_101
; %bb.84:                               ;   in Loop: Header=BB2_83 Depth=2
	v_add_co_u32 v17, vcc_lo, v15, 1
	v_add_co_ci_u32_e32 v18, vcc_lo, 0, v16, vcc_lo
	v_add_co_u32 v20, vcc_lo, v52, 8
	v_add_co_ci_u32_e32 v21, vcc_lo, 0, v53, vcc_lo
	s_mov_b32 s12, exec_lo
	s_delay_alu instid0(VALU_DEP_1)
	v_cmpx_lt_u64_e64 v[20:21], v[17:18]
	s_cbranch_execz .LBB2_98
; %bb.85:                               ;   in Loop: Header=BB2_83 Depth=2
	s_sleep 1
	flat_load_b64 v[52:53], v[50:51] glc
	v_cmp_eq_u32_e32 vcc_lo, 0, v135
	s_and_saveexec_b32 s21, vcc_lo
	s_cbranch_execz .LBB2_97
; %bb.86:                               ;   in Loop: Header=BB2_83 Depth=2
	v_cndmask_b32_e64 v16, 0, 1, vcc_lo
	s_mov_b32 s22, 0
                                        ; implicit-def: $sgpr23
	s_branch .LBB2_90
.LBB2_87:                               ;   in Loop: Header=BB2_90 Depth=3
	s_or_b32 exec_lo, exec_lo, s26
	s_delay_alu instid0(SALU_CYCLE_1)
	s_or_not1_b32 s26, s27, exec_lo
.LBB2_88:                               ;   in Loop: Header=BB2_90 Depth=3
	s_or_b32 exec_lo, exec_lo, s25
	s_xor_b32 s25, s26, -1
	s_and_not1_b32 s23, s23, exec_lo
	s_and_b32 s25, s25, exec_lo
	s_delay_alu instid0(SALU_CYCLE_1)
	s_or_b32 s23, s23, s25
.LBB2_89:                               ;   in Loop: Header=BB2_90 Depth=3
	s_or_b32 exec_lo, exec_lo, s24
	s_delay_alu instid0(SALU_CYCLE_1) | instskip(NEXT) | instid1(SALU_CYCLE_1)
	s_and_b32 s24, exec_lo, s23
	s_or_b32 s22, s24, s22
	s_delay_alu instid0(SALU_CYCLE_1)
	s_and_not1_b32 exec_lo, exec_lo, s22
	s_cbranch_execz .LBB2_96
.LBB2_90:                               ;   Parent Loop BB2_32 Depth=1
                                        ;     Parent Loop BB2_83 Depth=2
                                        ; =>    This Inner Loop Header: Depth=3
	s_waitcnt vmcnt(0) lgkmcnt(0)
	v_add_co_u32 v20, vcc_lo, v52, 8
	v_add_co_ci_u32_e32 v21, vcc_lo, 0, v53, vcc_lo
	v_mov_b32_e32 v135, 0
	s_or_b32 s23, s23, exec_lo
	s_mov_b32 s24, exec_lo
	s_delay_alu instid0(VALU_DEP_2)
	v_cmpx_lt_u64_e64 v[20:21], v[17:18]
	s_cbranch_execz .LBB2_89
; %bb.91:                               ;   in Loop: Header=BB2_90 Depth=3
	s_sleep 1
	flat_load_b64 v[52:53], v[50:51] glc
	v_dual_mov_b32 v135, 0 :: v_dual_add_nc_u32 v16, 1, v16
	s_mov_b32 s26, -1
	s_mov_b32 s25, exec_lo
	s_delay_alu instid0(VALU_DEP_1)
	v_cmpx_eq_u32_e32 0x2710, v16
	s_cbranch_execz .LBB2_88
; %bb.92:                               ;   in Loop: Header=BB2_90 Depth=3
	s_cbranch_execnz .LBB2_243
; %bb.93:                               ;   in Loop: Header=BB2_90 Depth=3
	ds_load_b64 v[20:21], v0
	v_dual_mov_b32 v16, 0 :: v_dual_mov_b32 v135, 0
	s_mov_b32 s27, -1
	s_mov_b32 s26, exec_lo
	s_waitcnt vmcnt(0) lgkmcnt(0)
	s_waitcnt_vscnt null, 0x0
	flat_load_b32 v20, v[20:21] glc
	s_waitcnt vmcnt(0) lgkmcnt(0)
	buffer_gl1_inv
	buffer_gl0_inv
	v_cmpx_ne_u32_e32 0, v20
	s_cbranch_execz .LBB2_87
; %bb.94:                               ;   in Loop: Header=BB2_90 Depth=3
	ds_store_b32 v0, v20
	s_cbranch_execnz .LBB2_270
; %bb.95:                               ;   in Loop: Header=BB2_90 Depth=3
	v_mov_b32_e32 v135, 1
	s_xor_b32 s27, exec_lo, -1
	s_branch .LBB2_87
.LBB2_96:                               ;   in Loop: Header=BB2_83 Depth=2
	s_or_b32 exec_lo, exec_lo, s22
.LBB2_97:                               ;   in Loop: Header=BB2_83 Depth=2
	s_delay_alu instid0(SALU_CYCLE_1)
	s_or_b32 exec_lo, exec_lo, s21
.LBB2_98:                               ;   in Loop: Header=BB2_83 Depth=2
	s_delay_alu instid0(SALU_CYCLE_1)
	s_or_b32 exec_lo, exec_lo, s12
	s_and_saveexec_b32 s12, s2
	s_cbranch_execz .LBB2_100
; %bb.99:                               ;   in Loop: Header=BB2_83 Depth=2
	v_dual_mov_b32 v21, v118 :: v_dual_and_b32 v20, 0x7ffffff8, v15
	v_and_b32_e32 v16, 7, v15
	s_delay_alu instid0(VALU_DEP_2) | instskip(NEXT) | instid1(VALU_DEP_2)
	v_cmp_eq_u64_e32 vcc_lo, 0x7ffffff8, v[20:21]
	v_mad_u64_u32 v[20:21], null, v16, 24, v[13:14]
	v_cndmask_b32_e64 v15, v145, s15, vcc_lo
	s_delay_alu instid0(VALU_DEP_1)
	v_ashrrev_i32_e32 v16, 31, v15
	flat_store_b64 v[20:21], v[15:16] offset:8 dlc
	s_waitcnt_vscnt null, 0x0
.LBB2_100:                              ;   in Loop: Header=BB2_83 Depth=2
	s_or_b32 exec_lo, exec_lo, s12
	v_dual_mov_b32 v15, v17 :: v_dual_mov_b32 v16, v18
.LBB2_101:                              ;   in Loop: Header=BB2_83 Depth=2
	s_or_b32 exec_lo, exec_lo, s11
	s_and_saveexec_b32 s11, s3
	s_cbranch_execz .LBB2_123
; %bb.102:                              ;   in Loop: Header=BB2_83 Depth=2
	s_and_saveexec_b32 s12, s4
	s_delay_alu instid0(SALU_CYCLE_1)
	s_xor_b32 s12, exec_lo, s12
	s_cbranch_execz .LBB2_120
; %bb.103:                              ;   in Loop: Header=BB2_83 Depth=2
	s_and_saveexec_b32 s21, s5
	s_cbranch_execz .LBB2_119
; %bb.104:                              ;   in Loop: Header=BB2_83 Depth=2
	s_mov_b32 s23, exec_lo
	s_mov_b32 s22, exec_lo
	v_mbcnt_lo_u32_b32 v17, s23, 0
	s_waitcnt vmcnt(0) lgkmcnt(0)
	s_waitcnt_vscnt null, 0x0
	buffer_gl1_inv
	buffer_gl0_inv
	v_cmpx_eq_u32_e32 0, v17
	s_cbranch_execz .LBB2_106
; %bb.105:                              ;   in Loop: Header=BB2_83 Depth=2
	s_bcnt1_i32_b32 s23, s23
	s_delay_alu instid0(SALU_CYCLE_1)
	v_dual_mov_b32 v18, v118 :: v_dual_mov_b32 v17, s23
	ds_add_u64 v0, v[17:18]
	s_cbranch_execnz .LBB2_268
.LBB2_106:                              ;   in Loop: Header=BB2_83 Depth=2
	s_or_b32 exec_lo, exec_lo, s22
	s_cbranch_execnz .LBB2_262
; %bb.107:                              ;   in Loop: Header=BB2_83 Depth=2
	ds_load_b64 v[17:18], v0
	v_add_co_u32 v2, vcc_lo, v2, v119
	v_add_co_ci_u32_e32 v3, vcc_lo, v3, v69, vcc_lo
	s_mov_b32 s22, exec_lo
	s_waitcnt lgkmcnt(0)
	s_delay_alu instid0(VALU_DEP_1)
	v_cmpx_lt_u64_e64 v[17:18], v[2:3]
	s_cbranch_execz .LBB2_118
; %bb.108:                              ;   in Loop: Header=BB2_83 Depth=2
	s_mov_b32 s23, 0
	s_mov_b32 s26, 0
                                        ; implicit-def: $sgpr24
                                        ; implicit-def: $sgpr25
	s_branch .LBB2_110
.LBB2_109:                              ;   in Loop: Header=BB2_110 Depth=3
	s_or_b32 exec_lo, exec_lo, s29
	s_delay_alu instid0(SALU_CYCLE_1) | instskip(NEXT) | instid1(SALU_CYCLE_1)
	s_and_b32 s27, exec_lo, s28
	s_or_b32 s23, s27, s23
	s_and_not1_b32 s24, s24, exec_lo
	s_and_b32 s27, s25, exec_lo
	s_delay_alu instid0(SALU_CYCLE_1)
	s_or_b32 s24, s24, s27
	s_and_not1_b32 exec_lo, exec_lo, s23
	s_cbranch_execz .LBB2_116
.LBB2_110:                              ;   Parent Loop BB2_32 Depth=1
                                        ;     Parent Loop BB2_83 Depth=2
                                        ; =>    This Inner Loop Header: Depth=3
	s_add_i32 s26, s26, 1
                                        ; implicit-def: $sgpr28
	s_delay_alu instid0(SALU_CYCLE_1) | instskip(SKIP_1) | instid1(SALU_CYCLE_1)
	s_cmpk_lg_i32 s26, 0x2710
	s_cselect_b32 s27, -1, 0
	s_and_b32 vcc_lo, exec_lo, s27
	s_cbranch_vccz .LBB2_114
.LBB2_111:                              ;   in Loop: Header=BB2_110 Depth=3
	s_and_not1_b32 s25, s25, exec_lo
	s_and_b32 s29, s28, exec_lo
	s_mov_b32 s28, -1
	s_or_b32 s25, s25, s29
	s_and_saveexec_b32 s29, s27
	s_cbranch_execz .LBB2_109
; %bb.112:                              ;   in Loop: Header=BB2_110 Depth=3
	s_sleep 1
	s_cbranch_execnz .LBB2_286
; %bb.113:                              ;   in Loop: Header=BB2_110 Depth=3
	ds_load_b64 v[17:18], v0
	s_and_not1_b32 s25, s25, exec_lo
	s_waitcnt lgkmcnt(0)
	v_cmp_ge_u64_e32 vcc_lo, v[17:18], v[2:3]
	s_or_not1_b32 s28, vcc_lo, exec_lo
	s_branch .LBB2_109
.LBB2_114:                              ;   in Loop: Header=BB2_110 Depth=3
	s_cbranch_execnz .LBB2_290
; %bb.115:                              ;   in Loop: Header=BB2_110 Depth=3
	ds_load_b64 v[17:18], v0
	s_and_not1_b32 s27, s27, exec_lo
	s_mov_b32 s26, 0
	s_mov_b32 s28, -1
	s_waitcnt lgkmcnt(0)
	flat_load_b32 v17, v[17:18] glc
	s_waitcnt vmcnt(0) lgkmcnt(0)
	buffer_gl1_inv
	buffer_gl0_inv
	v_cmp_eq_u32_e32 vcc_lo, 0, v17
	s_and_b32 s29, vcc_lo, exec_lo
	s_delay_alu instid0(SALU_CYCLE_1)
	s_or_b32 s27, s27, s29
	s_branch .LBB2_111
.LBB2_116:                              ;   in Loop: Header=BB2_83 Depth=2
	s_or_b32 exec_lo, exec_lo, s23
	s_and_saveexec_b32 s23, s24
	s_delay_alu instid0(SALU_CYCLE_1)
	s_xor_b32 s23, exec_lo, s23
	s_cbranch_execz .LBB2_118
; %bb.117:                              ;   in Loop: Header=BB2_83 Depth=2
	ds_store_b32 v0, v71
	s_cbranch_execnz .LBB2_311
.LBB2_118:                              ;   in Loop: Header=BB2_83 Depth=2
	s_or_b32 exec_lo, exec_lo, s22
	;;#ASMSTART
	s_wakeup
	;;#ASMEND
.LBB2_119:                              ;   in Loop: Header=BB2_83 Depth=2
	s_or_b32 exec_lo, exec_lo, s21
.LBB2_120:                              ;   in Loop: Header=BB2_83 Depth=2
	s_and_not1_saveexec_b32 s12, s12
	s_cbranch_execz .LBB2_122
; %bb.121:                              ;   in Loop: Header=BB2_83 Depth=2
	s_waitcnt vmcnt(0) lgkmcnt(0)
	s_waitcnt_vscnt null, 0x0
	buffer_gl1_inv
	buffer_gl0_inv
	s_barrier
.LBB2_122:                              ;   in Loop: Header=BB2_83 Depth=2
	s_or_b32 exec_lo, exec_lo, s12
.LBB2_123:                              ;   in Loop: Header=BB2_83 Depth=2
	s_delay_alu instid0(SALU_CYCLE_1)
	s_or_b32 exec_lo, exec_lo, s11
	v_mov_b32_e32 v100, v4
	s_and_saveexec_b32 s21, s10
	s_cbranch_execz .LBB2_143
; %bb.124:                              ;   in Loop: Header=BB2_83 Depth=2
	s_waitcnt vmcnt(0) lgkmcnt(0)
	v_ashrrev_i32_e32 v20, 31, v19
	v_mul_lo_u32 v22, v65, v19
	v_mad_u64_u32 v[17:18], null, v64, v19, 0
	v_dual_mov_b32 v100, v98 :: v_dual_and_b32 v19, 7, v32
	s_delay_alu instid0(VALU_DEP_4) | instskip(SKIP_2) | instid1(VALU_DEP_4)
	v_mul_lo_u32 v20, v64, v20
	v_and_b32_e32 v21, 7, v98
	v_add_nc_u32_e32 v149, 1, v32
	v_mul_lo_u32 v19, v19, s17
	v_mov_b32_e32 v163, v144
	s_mov_b32 s22, 0
	v_mul_lo_u32 v21, v21, s17
                                        ; implicit-def: $vgpr112_vgpr113
	v_add3_u32 v18, v18, v20, v22
	s_delay_alu instid0(VALU_DEP_4) | instskip(NEXT) | instid1(VALU_DEP_2)
	v_ashrrev_i32_e32 v20, 31, v19
	v_lshlrev_b64 v[17:18], 2, v[17:18]
	s_delay_alu instid0(VALU_DEP_4) | instskip(NEXT) | instid1(VALU_DEP_3)
	v_ashrrev_i32_e32 v22, 31, v21
	v_lshlrev_b64 v[19:20], 4, v[19:20]
	s_delay_alu instid0(VALU_DEP_2) | instskip(NEXT) | instid1(VALU_DEP_4)
	v_lshlrev_b64 v[21:22], 4, v[21:22]
	v_add_co_u32 v102, vcc_lo, v146, v17
	v_add_co_ci_u32_e32 v103, vcc_lo, v147, v18, vcc_lo
	s_delay_alu instid0(VALU_DEP_4)
	v_add_co_u32 v150, vcc_lo, v29, v19
	v_add_co_ci_u32_e32 v151, vcc_lo, v30, v20, vcc_lo
	v_add_co_u32 v160, vcc_lo, v38, v21
	v_add_co_ci_u32_e32 v161, vcc_lo, v39, v22, vcc_lo
	;; [unrolled: 2-line block ×3, first 2 shown]
	v_mov_b32_e32 v100, v4
	s_branch .LBB2_128
.LBB2_125:                              ;   in Loop: Header=BB2_128 Depth=3
	s_or_b32 exec_lo, exec_lo, s24
	s_xor_b32 s11, s25, -1
	s_delay_alu instid0(SALU_CYCLE_1) | instskip(NEXT) | instid1(SALU_CYCLE_1)
	s_and_saveexec_b32 s24, s11
	s_xor_b32 s11, exec_lo, s24
	s_delay_alu instid0(SALU_CYCLE_1) | instskip(NEXT) | instid1(SALU_CYCLE_1)
	s_and_not1_saveexec_b32 s11, s11
	s_or_b32 exec_lo, exec_lo, s11
.LBB2_126:                              ;   in Loop: Header=BB2_128 Depth=3
	s_delay_alu instid0(SALU_CYCLE_1)
	s_or_b32 exec_lo, exec_lo, s12
.LBB2_127:                              ;   in Loop: Header=BB2_128 Depth=3
	s_delay_alu instid0(SALU_CYCLE_1)
	s_or_b32 exec_lo, exec_lo, s23
	s_waitcnt vmcnt(0) lgkmcnt(0)
	v_max_f32_e32 v17, v17, v17
	v_dual_max_f32 v19, v19, v19 :: v_dual_max_f32 v20, v113, v113
	v_max_f32_e32 v21, v21, v21
	v_add_co_u32 v102, vcc_lo, v102, v86
	s_delay_alu instid0(VALU_DEP_3) | instskip(SKIP_1) | instid1(VALU_DEP_4)
	v_min_f32_e32 v22, v19, v17
	v_max_f32_e32 v17, v19, v17
	v_min_f32_e32 v19, v21, v20
	v_max_f32_e32 v20, v21, v20
	v_sub_nc_u32_e32 v163, v163, v70
	v_add_co_ci_u32_e32 v103, vcc_lo, v103, v87, vcc_lo
	v_cndmask_b32_e64 v17, v22, v17, s6
	s_delay_alu instid0(VALU_DEP_4)
	v_cndmask_b32_e64 v19, v19, v20, s6
	v_add_co_u32 v21, vcc_lo, v160, v114
	v_add_co_ci_u32_e32 v22, vcc_lo, v161, v115, vcc_lo
	v_cmp_gt_i32_e32 vcc_lo, 1, v163
	v_or_b32_e32 v17, v162, v17
	v_or_b32_e32 v19, v162, v19
	v_mov_b32_e32 v20, v18
	v_add_nc_u32_e32 v100, v100, v1
	s_or_b32 s22, vcc_lo, s22
	global_store_b128 v[21:22], v[17:20], off
	s_and_not1_b32 exec_lo, exec_lo, s22
	s_cbranch_execz .LBB2_142
.LBB2_128:                              ;   Parent Loop BB2_32 Depth=1
                                        ;     Parent Loop BB2_83 Depth=2
                                        ; =>    This Loop Header: Depth=3
                                        ;         Child Loop BB2_134 Depth 4
	flat_load_b32 v17, v[102:103] glc
	s_mov_b32 s11, exec_lo
	v_cmpx_ne_u32_e32 1, v163
	s_cbranch_execz .LBB2_130
; %bb.129:                              ;   in Loop: Header=BB2_128 Depth=3
	flat_load_b32 v113, v[102:103] offset:4 glc
.LBB2_130:                              ;   in Loop: Header=BB2_128 Depth=3
	s_or_b32 exec_lo, exec_lo, s11
	v_ashrrev_i32_e32 v101, 31, v100
	s_delay_alu instid0(VALU_DEP_1) | instskip(NEXT) | instid1(VALU_DEP_1)
	v_lshlrev_b64 v[114:115], 4, v[100:101]
	v_add_co_u32 v116, vcc_lo, v150, v114
	s_delay_alu instid0(VALU_DEP_2)
	v_add_co_ci_u32_e32 v117, vcc_lo, v151, v115, vcc_lo
	v_cmp_eq_u32_e32 vcc_lo, 0, v135
	;;#ASMSTART
	global_load_b128 v[19:22], v[116:117], off glc slc dlc
s_waitcnt vmcnt(0)

	;;#ASMEND
	s_and_saveexec_b32 s23, vcc_lo
	s_cbranch_execz .LBB2_127
; %bb.131:                              ;   in Loop: Header=BB2_128 Depth=3
	v_cmp_ne_u32_e64 s11, v149, v20
	v_cmp_ne_u32_e64 s12, v149, v22
	v_mov_b32_e32 v135, 0
	s_delay_alu instid0(VALU_DEP_2) | instskip(NEXT) | instid1(SALU_CYCLE_1)
	s_or_b32 s11, s11, s12
	s_and_saveexec_b32 s12, s11
	s_cbranch_execz .LBB2_126
; %bb.132:                              ;   in Loop: Header=BB2_128 Depth=3
	v_cndmask_b32_e64 v101, 0, 1, vcc_lo
	s_mov_b32 s24, 0
                                        ; implicit-def: $sgpr25
                                        ; implicit-def: $sgpr26
	s_branch .LBB2_134
.LBB2_133:                              ;   in Loop: Header=BB2_134 Depth=4
	s_or_b32 exec_lo, exec_lo, s27
	s_delay_alu instid0(SALU_CYCLE_1) | instskip(NEXT) | instid1(SALU_CYCLE_1)
	s_and_b32 s11, exec_lo, s11
	s_or_b32 s24, s11, s24
	s_and_not1_b32 s11, s25, exec_lo
	s_and_b32 s25, s26, exec_lo
	s_delay_alu instid0(SALU_CYCLE_1)
	s_or_b32 s25, s11, s25
	s_and_not1_b32 exec_lo, exec_lo, s24
	s_cbranch_execz .LBB2_125
.LBB2_134:                              ;   Parent Loop BB2_32 Depth=1
                                        ;     Parent Loop BB2_83 Depth=2
                                        ;       Parent Loop BB2_128 Depth=3
                                        ; =>      This Inner Loop Header: Depth=4
	s_delay_alu instid0(VALU_DEP_1)
	v_add_nc_u32_e32 v101, 1, v101
	v_mov_b32_e32 v135, 0
	s_mov_b32 s11, -1
	s_mov_b32 s28, -1
	s_mov_b32 s27, exec_lo
	;;#ASMSTART
	global_load_b128 v[19:22], v[116:117], off glc slc dlc
s_waitcnt vmcnt(0)

	;;#ASMEND
	v_cmpx_eq_u32_e32 0x2710, v101
	s_cbranch_execz .LBB2_140
; %bb.135:                              ;   in Loop: Header=BB2_134 Depth=4
	s_cbranch_execnz .LBB2_237
; %bb.136:                              ;   in Loop: Header=BB2_134 Depth=4
	ds_load_b64 v[164:165], v0
	v_mov_b32_e32 v101, 0
	v_mov_b32_e32 v135, 0
	s_mov_b32 s29, -1
	s_mov_b32 s28, exec_lo
	s_waitcnt vmcnt(0) lgkmcnt(0)
	s_waitcnt_vscnt null, 0x0
	flat_load_b32 v112, v[164:165] glc
	s_waitcnt vmcnt(0) lgkmcnt(0)
	buffer_gl1_inv
	buffer_gl0_inv
	v_cmpx_ne_u32_e32 0, v112
	s_cbranch_execz .LBB2_139
; %bb.137:                              ;   in Loop: Header=BB2_134 Depth=4
	ds_store_b32 v0, v112
	s_cbranch_execnz .LBB2_245
; %bb.138:                              ;   in Loop: Header=BB2_134 Depth=4
	v_mov_b32_e32 v135, 1
	s_xor_b32 s29, exec_lo, -1
.LBB2_139:                              ;   in Loop: Header=BB2_134 Depth=4
	s_or_b32 exec_lo, exec_lo, s28
	s_delay_alu instid0(SALU_CYCLE_1)
	s_or_not1_b32 s28, s29, exec_lo
.LBB2_140:                              ;   in Loop: Header=BB2_134 Depth=4
	s_or_b32 exec_lo, exec_lo, s27
	s_delay_alu instid0(SALU_CYCLE_1)
	s_or_b32 s26, s26, exec_lo
	s_and_saveexec_b32 s27, s28
	s_cbranch_execz .LBB2_133
; %bb.141:                              ;   in Loop: Header=BB2_134 Depth=4
	v_cmp_eq_u32_e32 vcc_lo, v149, v20
	v_cmp_eq_u32_e64 s11, v149, v22
	s_and_not1_b32 s26, s26, exec_lo
	s_delay_alu instid0(VALU_DEP_1) | instskip(NEXT) | instid1(SALU_CYCLE_1)
	s_and_b32 s11, vcc_lo, s11
	s_or_not1_b32 s11, s11, exec_lo
	s_branch .LBB2_133
.LBB2_142:                              ;   in Loop: Header=BB2_83 Depth=2
	s_or_b32 exec_lo, exec_lo, s22
.LBB2_143:                              ;   in Loop: Header=BB2_83 Depth=2
	s_delay_alu instid0(SALU_CYCLE_1)
	s_or_b32 exec_lo, exec_lo, s21
	s_and_saveexec_b32 s11, s3
	s_cbranch_execz .LBB2_165
; %bb.144:                              ;   in Loop: Header=BB2_83 Depth=2
	s_and_saveexec_b32 s12, s4
	s_delay_alu instid0(SALU_CYCLE_1)
	s_xor_b32 s12, exec_lo, s12
	s_cbranch_execz .LBB2_162
; %bb.145:                              ;   in Loop: Header=BB2_83 Depth=2
	s_and_saveexec_b32 s21, s5
	s_cbranch_execz .LBB2_161
; %bb.146:                              ;   in Loop: Header=BB2_83 Depth=2
	s_mov_b32 s23, exec_lo
	s_mov_b32 s22, exec_lo
	v_mbcnt_lo_u32_b32 v17, s23, 0
	s_waitcnt vmcnt(0) lgkmcnt(0)
	s_waitcnt_vscnt null, 0x0
	buffer_gl1_inv
	buffer_gl0_inv
	v_cmpx_eq_u32_e32 0, v17
	s_cbranch_execz .LBB2_148
; %bb.147:                              ;   in Loop: Header=BB2_83 Depth=2
	s_bcnt1_i32_b32 s23, s23
	s_delay_alu instid0(SALU_CYCLE_1)
	v_dual_mov_b32 v18, v118 :: v_dual_mov_b32 v17, s23
	ds_add_u64 v0, v[17:18]
	s_cbranch_execnz .LBB2_280
.LBB2_148:                              ;   in Loop: Header=BB2_83 Depth=2
	s_or_b32 exec_lo, exec_lo, s22
	s_cbranch_execnz .LBB2_272
; %bb.149:                              ;   in Loop: Header=BB2_83 Depth=2
	ds_load_b64 v[17:18], v0
	v_add_co_u32 v2, vcc_lo, v2, v119
	v_add_co_ci_u32_e32 v3, vcc_lo, v3, v69, vcc_lo
	s_mov_b32 s22, exec_lo
	s_waitcnt lgkmcnt(0)
	s_delay_alu instid0(VALU_DEP_1)
	v_cmpx_lt_u64_e64 v[17:18], v[2:3]
	s_cbranch_execz .LBB2_160
; %bb.150:                              ;   in Loop: Header=BB2_83 Depth=2
	s_mov_b32 s23, 0
	s_mov_b32 s26, 0
                                        ; implicit-def: $sgpr24
                                        ; implicit-def: $sgpr25
	s_branch .LBB2_152
.LBB2_151:                              ;   in Loop: Header=BB2_152 Depth=3
	s_or_b32 exec_lo, exec_lo, s29
	s_delay_alu instid0(SALU_CYCLE_1) | instskip(NEXT) | instid1(SALU_CYCLE_1)
	s_and_b32 s27, exec_lo, s28
	s_or_b32 s23, s27, s23
	s_and_not1_b32 s24, s24, exec_lo
	s_and_b32 s27, s25, exec_lo
	s_delay_alu instid0(SALU_CYCLE_1)
	s_or_b32 s24, s24, s27
	s_and_not1_b32 exec_lo, exec_lo, s23
	s_cbranch_execz .LBB2_158
.LBB2_152:                              ;   Parent Loop BB2_32 Depth=1
                                        ;     Parent Loop BB2_83 Depth=2
                                        ; =>    This Inner Loop Header: Depth=3
	s_add_i32 s26, s26, 1
                                        ; implicit-def: $sgpr28
	s_delay_alu instid0(SALU_CYCLE_1) | instskip(SKIP_1) | instid1(SALU_CYCLE_1)
	s_cmpk_lg_i32 s26, 0x2710
	s_cselect_b32 s27, -1, 0
	s_and_b32 vcc_lo, exec_lo, s27
	s_cbranch_vccz .LBB2_156
.LBB2_153:                              ;   in Loop: Header=BB2_152 Depth=3
	s_and_not1_b32 s25, s25, exec_lo
	s_and_b32 s29, s28, exec_lo
	s_mov_b32 s28, -1
	s_or_b32 s25, s25, s29
	s_and_saveexec_b32 s29, s27
	s_cbranch_execz .LBB2_151
; %bb.154:                              ;   in Loop: Header=BB2_152 Depth=3
	s_sleep 1
	s_cbranch_execnz .LBB2_292
; %bb.155:                              ;   in Loop: Header=BB2_152 Depth=3
	ds_load_b64 v[17:18], v0
	s_and_not1_b32 s25, s25, exec_lo
	s_waitcnt lgkmcnt(0)
	v_cmp_ge_u64_e32 vcc_lo, v[17:18], v[2:3]
	s_or_not1_b32 s28, vcc_lo, exec_lo
	s_branch .LBB2_151
.LBB2_156:                              ;   in Loop: Header=BB2_152 Depth=3
	s_cbranch_execnz .LBB2_294
; %bb.157:                              ;   in Loop: Header=BB2_152 Depth=3
	ds_load_b64 v[17:18], v0
	s_and_not1_b32 s27, s27, exec_lo
	s_mov_b32 s26, 0
	s_mov_b32 s28, -1
	s_waitcnt lgkmcnt(0)
	flat_load_b32 v17, v[17:18] glc
	s_waitcnt vmcnt(0) lgkmcnt(0)
	buffer_gl1_inv
	buffer_gl0_inv
	v_cmp_eq_u32_e32 vcc_lo, 0, v17
	s_and_b32 s29, vcc_lo, exec_lo
	s_delay_alu instid0(SALU_CYCLE_1)
	s_or_b32 s27, s27, s29
	s_branch .LBB2_153
.LBB2_158:                              ;   in Loop: Header=BB2_83 Depth=2
	s_or_b32 exec_lo, exec_lo, s23
	s_and_saveexec_b32 s23, s24
	s_delay_alu instid0(SALU_CYCLE_1)
	s_xor_b32 s23, exec_lo, s23
	s_cbranch_execz .LBB2_160
; %bb.159:                              ;   in Loop: Header=BB2_83 Depth=2
	ds_store_b32 v0, v71
	s_cbranch_execnz .LBB2_313
.LBB2_160:                              ;   in Loop: Header=BB2_83 Depth=2
	s_or_b32 exec_lo, exec_lo, s22
	;;#ASMSTART
	s_wakeup
	;;#ASMEND
.LBB2_161:                              ;   in Loop: Header=BB2_83 Depth=2
	s_or_b32 exec_lo, exec_lo, s21
.LBB2_162:                              ;   in Loop: Header=BB2_83 Depth=2
	s_and_not1_saveexec_b32 s12, s12
	s_cbranch_execz .LBB2_164
; %bb.163:                              ;   in Loop: Header=BB2_83 Depth=2
	s_waitcnt vmcnt(0) lgkmcnt(0)
	s_waitcnt_vscnt null, 0x0
	buffer_gl1_inv
	buffer_gl0_inv
	s_barrier
.LBB2_164:                              ;   in Loop: Header=BB2_83 Depth=2
	s_or_b32 exec_lo, exec_lo, s12
.LBB2_165:                              ;   in Loop: Header=BB2_83 Depth=2
	s_delay_alu instid0(SALU_CYCLE_1)
	s_or_b32 exec_lo, exec_lo, s11
	s_and_saveexec_b32 s11, s7
	s_cbranch_execz .LBB2_167
; %bb.166:                              ;   in Loop: Header=BB2_83 Depth=2
	v_add_co_u32 v48, vcc_lo, v48, 1
	v_add_co_ci_u32_e32 v49, vcc_lo, 0, v49, vcc_lo
	s_waitcnt vmcnt(0) lgkmcnt(0)
	s_waitcnt_vscnt null, 0x0
	flat_store_b64 v[36:37], v[48:49]
.LBB2_167:                              ;   in Loop: Header=BB2_83 Depth=2
	s_or_b32 exec_lo, exec_lo, s11
	v_dual_mov_b32 v18, v118 :: v_dual_and_b32 v17, 0x7ffffff8, v98
	v_cmp_gt_i32_e64 s11, s17, v100
	s_delay_alu instid0(VALU_DEP_2) | instskip(NEXT) | instid1(VALU_DEP_2)
	v_cmp_eq_u64_e32 vcc_lo, 0x7ffffff8, v[17:18]
	s_and_b32 s11, vcc_lo, s11
	s_delay_alu instid0(SALU_CYCLE_1)
	s_and_saveexec_b32 s12, s11
	s_cbranch_execz .LBB2_170
; %bb.168:                              ;   in Loop: Header=BB2_83 Depth=2
	v_and_b32_e32 v17, 7, v148
	v_ashrrev_i32_e32 v101, 31, v100
	v_mov_b32_e32 v21, v98
	s_mov_b32 s21, 0
	s_delay_alu instid0(VALU_DEP_3) | instskip(SKIP_2) | instid1(VALU_DEP_2)
	v_mul_lo_u32 v17, s17, v17
	s_waitcnt vmcnt(0) lgkmcnt(0)
	v_lshlrev_b64 v[19:20], 4, v[100:101]
	v_ashrrev_i32_e32 v18, 31, v17
	s_delay_alu instid0(VALU_DEP_1) | instskip(NEXT) | instid1(VALU_DEP_1)
	v_lshlrev_b64 v[17:18], 4, v[17:18]
	v_add_co_u32 v19, vcc_lo, v19, v17
	s_delay_alu instid0(VALU_DEP_2) | instskip(SKIP_2) | instid1(VALU_DEP_4)
	v_add_co_ci_u32_e32 v20, vcc_lo, v20, v18, vcc_lo
	v_add_co_u32 v17, vcc_lo, 0, 0
	v_add_co_ci_u32_e32 v18, vcc_lo, 1, v21, vcc_lo
	v_add_co_u32 v21, vcc_lo, v38, v19
	s_delay_alu instid0(VALU_DEP_4)
	v_add_co_ci_u32_e32 v22, vcc_lo, v39, v20, vcc_lo
.LBB2_169:                              ;   Parent Loop BB2_32 Depth=1
                                        ;     Parent Loop BB2_83 Depth=2
                                        ; =>    This Inner Loop Header: Depth=3
	s_delay_alu instid0(VALU_DEP_4) | instskip(NEXT) | instid1(VALU_DEP_4)
	v_dual_mov_b32 v19, v17 :: v_dual_add_nc_u32 v100, v100, v1
	v_mov_b32_e32 v20, v18
	s_delay_alu instid0(VALU_DEP_2) | instskip(SKIP_2) | instid1(VALU_DEP_1)
	v_cmp_le_i32_e32 vcc_lo, s17, v100
	global_store_b128 v[21:22], v[17:20], off
	v_add_co_u32 v21, s11, v21, v5
	v_add_co_ci_u32_e64 v22, s11, v22, v6, s11
	s_or_b32 s21, vcc_lo, s21
	s_delay_alu instid0(SALU_CYCLE_1)
	s_and_not1_b32 exec_lo, exec_lo, s21
	s_cbranch_execnz .LBB2_169
.LBB2_170:                              ;   in Loop: Header=BB2_83 Depth=2
	s_or_b32 exec_lo, exec_lo, s12
	v_add_co_u32 v32, vcc_lo, v32, 1
	v_add_co_ci_u32_e32 v33, vcc_lo, 0, v33, vcc_lo
	v_add_co_u32 v98, vcc_lo, v98, 1
	v_add_co_ci_u32_e32 v99, vcc_lo, 0, v99, vcc_lo
	v_add_nc_u16 v148, v148, 1
	s_add_i32 s20, s20, 1
	s_delay_alu instid0(SALU_CYCLE_1)
	s_cmp_eq_u32 s20, s14
	s_cbranch_scc0 .LBB2_83
.LBB2_171:                              ;   in Loop: Header=BB2_32 Depth=1
	s_delay_alu instid0(VALU_DEP_1)
	v_dual_mov_b32 v21, v98 :: v_dual_mov_b32 v22, v99
	s_and_saveexec_b32 s20, s10
	s_cbranch_execz .LBB2_197
; %bb.172:                              ;   in Loop: Header=BB2_32 Depth=1
	s_waitcnt vmcnt(0) lgkmcnt(0)
	flat_load_b32 v19, v[23:24]
	v_and_b32_e32 v98, 7, v32
	v_add_nc_u32_e32 v103, 1, v32
	s_mov_b32 s21, 0
	s_delay_alu instid0(VALU_DEP_2) | instskip(SKIP_4) | instid1(VALU_DEP_3)
	v_mul_lo_u32 v98, v98, s17
	s_waitcnt vmcnt(0) lgkmcnt(0)
	v_ashrrev_i32_e32 v20, 31, v19
	v_mul_lo_u32 v99, v65, v19
	v_mad_u64_u32 v[17:18], null, v64, v19, 0
	v_mul_lo_u32 v100, v64, v20
	v_lshlrev_b64 v[19:20], 2, v[96:97]
	s_delay_alu instid0(VALU_DEP_2) | instskip(NEXT) | instid1(VALU_DEP_2)
	v_add3_u32 v18, v18, v100, v99
	v_add_co_u32 v100, vcc_lo, v11, v19
	v_ashrrev_i32_e32 v99, 31, v98
	s_delay_alu instid0(VALU_DEP_4) | instskip(NEXT) | instid1(VALU_DEP_4)
	v_add_co_ci_u32_e32 v101, vcc_lo, v12, v20, vcc_lo
	v_lshlrev_b64 v[17:18], 2, v[17:18]
	v_add_co_u32 v96, vcc_lo, v130, v19
	v_add_co_ci_u32_e32 v97, vcc_lo, v131, v20, vcc_lo
	v_lshlrev_b64 v[19:20], 4, v[98:99]
	s_delay_alu instid0(VALU_DEP_4) | instskip(SKIP_2) | instid1(VALU_DEP_4)
	v_add_co_u32 v17, vcc_lo, v100, v17
	v_mov_b32_e32 v100, v4
	v_add_co_ci_u32_e32 v18, vcc_lo, v101, v18, vcc_lo
	v_add_co_u32 v114, vcc_lo, v29, v19
	v_add_co_ci_u32_e32 v115, vcc_lo, v30, v20, vcc_lo
	v_add_co_u32 v98, vcc_lo, v17, v80
	s_delay_alu instid0(VALU_DEP_4)
	v_add_co_ci_u32_e32 v99, vcc_lo, v18, v81, vcc_lo
                                        ; implicit-def: $vgpr101_vgpr102
	s_branch .LBB2_174
.LBB2_173:                              ;   in Loop: Header=BB2_174 Depth=2
	v_sub_nc_u32_e32 v144, v144, v70
	v_add_co_u32 v98, vcc_lo, v98, v86
	v_add_co_ci_u32_e32 v99, vcc_lo, v99, v87, vcc_lo
	s_delay_alu instid0(VALU_DEP_3) | instskip(SKIP_1) | instid1(VALU_DEP_1)
	v_cmp_gt_i32_e32 vcc_lo, 1, v144
	v_add_co_u32 v96, s10, v96, v86
	v_add_co_ci_u32_e64 v97, s10, v97, v87, s10
	v_add_nc_u32_e32 v100, v100, v1
	s_or_b32 s21, vcc_lo, s21
	s_delay_alu instid0(SALU_CYCLE_1)
	s_and_not1_b32 exec_lo, exec_lo, s21
	s_cbranch_execz .LBB2_196
.LBB2_174:                              ;   Parent Loop BB2_32 Depth=1
                                        ; =>  This Loop Header: Depth=2
                                        ;       Child Loop BB2_180 Depth 3
	flat_load_b32 v116, v[98:99] glc
	v_cmp_ne_u32_e32 vcc_lo, 1, v144
	s_and_saveexec_b32 s10, vcc_lo
	s_cbranch_execz .LBB2_176
; %bb.175:                              ;   in Loop: Header=BB2_174 Depth=2
	flat_load_b32 v102, v[98:99] offset:4 glc
.LBB2_176:                              ;   in Loop: Header=BB2_174 Depth=2
	s_or_b32 exec_lo, exec_lo, s10
	v_ashrrev_i32_e32 v101, 31, v100
	s_delay_alu instid0(VALU_DEP_1) | instskip(NEXT) | instid1(VALU_DEP_1)
	v_lshlrev_b64 v[17:18], 4, v[100:101]
	v_add_co_u32 v112, s10, v114, v17
	s_delay_alu instid0(VALU_DEP_1) | instskip(SKIP_2) | instid1(VALU_DEP_1)
	v_add_co_ci_u32_e64 v113, s10, v115, v18, s10
	v_cmp_eq_u32_e64 s10, 0, v135
	;;#ASMSTART
	global_load_b128 v[17:20], v[112:113], off glc slc dlc
s_waitcnt vmcnt(0)

	;;#ASMEND
	s_and_saveexec_b32 s22, s10
	s_cbranch_execz .LBB2_190
; %bb.177:                              ;   in Loop: Header=BB2_174 Depth=2
	v_cmp_ne_u32_e64 s11, v103, v18
	v_cmp_ne_u32_e64 s12, v103, v20
	v_mov_b32_e32 v135, 0
	s_delay_alu instid0(VALU_DEP_2) | instskip(NEXT) | instid1(SALU_CYCLE_1)
	s_or_b32 s11, s11, s12
	s_and_saveexec_b32 s12, s11
	s_cbranch_execz .LBB2_189
; %bb.178:                              ;   in Loop: Header=BB2_174 Depth=2
	v_cndmask_b32_e64 v101, 0, 1, s10
	s_mov_b32 s23, 0
                                        ; implicit-def: $sgpr24
                                        ; implicit-def: $sgpr25
	s_branch .LBB2_180
.LBB2_179:                              ;   in Loop: Header=BB2_180 Depth=3
	s_or_b32 exec_lo, exec_lo, s26
	s_delay_alu instid0(SALU_CYCLE_1) | instskip(NEXT) | instid1(SALU_CYCLE_1)
	s_and_b32 s10, exec_lo, s11
	s_or_b32 s23, s10, s23
	s_and_not1_b32 s10, s24, exec_lo
	s_and_b32 s11, s25, exec_lo
	s_delay_alu instid0(SALU_CYCLE_1)
	s_or_b32 s24, s10, s11
	s_and_not1_b32 exec_lo, exec_lo, s23
	s_cbranch_execz .LBB2_188
.LBB2_180:                              ;   Parent Loop BB2_32 Depth=1
                                        ;     Parent Loop BB2_174 Depth=2
                                        ; =>    This Inner Loop Header: Depth=3
	s_delay_alu instid0(VALU_DEP_1)
	v_add_nc_u32_e32 v101, 1, v101
	v_mov_b32_e32 v135, 0
	s_mov_b32 s11, -1
	s_mov_b32 s27, -1
	s_mov_b32 s26, exec_lo
	;;#ASMSTART
	global_load_b128 v[17:20], v[112:113], off glc slc dlc
s_waitcnt vmcnt(0)

	;;#ASMEND
	v_cmpx_eq_u32_e32 0x2710, v101
	s_cbranch_execz .LBB2_186
; %bb.181:                              ;   in Loop: Header=BB2_180 Depth=3
	s_cbranch_execnz .LBB2_239
; %bb.182:                              ;   in Loop: Header=BB2_180 Depth=3
	ds_load_b64 v[145:146], v0
	v_mov_b32_e32 v101, 0
	v_mov_b32_e32 v135, 0
	s_mov_b32 s28, -1
	s_mov_b32 s27, exec_lo
	s_waitcnt vmcnt(0) lgkmcnt(0)
	s_waitcnt_vscnt null, 0x0
	flat_load_b32 v117, v[145:146] glc
	s_waitcnt vmcnt(0) lgkmcnt(0)
	buffer_gl1_inv
	buffer_gl0_inv
	v_cmpx_ne_u32_e32 0, v117
	s_cbranch_execz .LBB2_185
; %bb.183:                              ;   in Loop: Header=BB2_180 Depth=3
	ds_store_b32 v0, v117
	s_cbranch_execnz .LBB2_251
; %bb.184:                              ;   in Loop: Header=BB2_180 Depth=3
	v_mov_b32_e32 v135, 1
	s_xor_b32 s28, exec_lo, -1
.LBB2_185:                              ;   in Loop: Header=BB2_180 Depth=3
	s_or_b32 exec_lo, exec_lo, s27
	s_delay_alu instid0(SALU_CYCLE_1)
	s_or_not1_b32 s27, s28, exec_lo
.LBB2_186:                              ;   in Loop: Header=BB2_180 Depth=3
	s_or_b32 exec_lo, exec_lo, s26
	s_delay_alu instid0(SALU_CYCLE_1)
	s_or_b32 s25, s25, exec_lo
	s_and_saveexec_b32 s26, s27
	s_cbranch_execz .LBB2_179
; %bb.187:                              ;   in Loop: Header=BB2_180 Depth=3
	v_cmp_eq_u32_e64 s10, v103, v18
	v_cmp_eq_u32_e64 s11, v103, v20
	s_and_not1_b32 s25, s25, exec_lo
	s_delay_alu instid0(VALU_DEP_1) | instskip(NEXT) | instid1(SALU_CYCLE_1)
	s_and_b32 s10, s10, s11
	s_or_not1_b32 s11, s10, exec_lo
	s_branch .LBB2_179
.LBB2_188:                              ;   in Loop: Header=BB2_174 Depth=2
	s_or_b32 exec_lo, exec_lo, s23
	s_xor_b32 s10, s24, -1
	s_delay_alu instid0(SALU_CYCLE_1) | instskip(NEXT) | instid1(SALU_CYCLE_1)
	s_and_saveexec_b32 s11, s10
	s_xor_b32 s10, exec_lo, s11
	s_delay_alu instid0(SALU_CYCLE_1) | instskip(NEXT) | instid1(SALU_CYCLE_1)
	s_and_not1_saveexec_b32 s10, s10
	s_or_b32 exec_lo, exec_lo, s10
.LBB2_189:                              ;   in Loop: Header=BB2_174 Depth=2
	s_delay_alu instid0(SALU_CYCLE_1)
	s_or_b32 exec_lo, exec_lo, s12
.LBB2_190:                              ;   in Loop: Header=BB2_174 Depth=2
	s_delay_alu instid0(SALU_CYCLE_1) | instskip(SKIP_4) | instid1(VALU_DEP_3)
	s_or_b32 exec_lo, exec_lo, s22
	v_cmp_ne_u32_e64 s10, 1, v144
	s_waitcnt vmcnt(0) lgkmcnt(0)
	v_dual_max_f32 v18, v116, v116 :: v_dual_max_f32 v17, v17, v17
	v_dual_max_f32 v20, v102, v102 :: v_dual_max_f32 v19, v19, v19
	s_and_b32 s10, s8, s10
	s_delay_alu instid0(VALU_DEP_2) | instskip(NEXT) | instid1(VALU_DEP_2)
	v_min_f32_e32 v112, v17, v18
	v_dual_max_f32 v17, v17, v18 :: v_dual_min_f32 v18, v19, v20
	v_max_f32_e32 v19, v19, v20
	v_cndmask_b32_e64 v101, 0, 1, s10
	;;#ASMSTART
	;;#ASMEND
	s_delay_alu instid0(VALU_DEP_1) | instskip(SKIP_2) | instid1(VALU_DEP_3)
	v_cmp_ne_u32_e64 s10, 0, v101
	v_cndmask_b32_e64 v17, v17, v112, s9
	v_cndmask_b32_e64 v18, v19, v18, s9
	s_cmp_lg_u32 s10, exec_lo
	s_mov_b32 s10, -1
	s_cbranch_scc0 .LBB2_194
; %bb.191:                              ;   in Loop: Header=BB2_174 Depth=2
	flat_store_b32 v[96:97], v17
	s_and_saveexec_b32 s10, vcc_lo
	s_cbranch_execz .LBB2_193
; %bb.192:                              ;   in Loop: Header=BB2_174 Depth=2
	flat_store_b32 v[96:97], v18 offset:4
.LBB2_193:                              ;   in Loop: Header=BB2_174 Depth=2
	s_or_b32 exec_lo, exec_lo, s10
	s_mov_b32 s10, 0
.LBB2_194:                              ;   in Loop: Header=BB2_174 Depth=2
	s_delay_alu instid0(SALU_CYCLE_1)
	s_and_not1_b32 vcc_lo, exec_lo, s10
	s_cbranch_vccnz .LBB2_173
; %bb.195:                              ;   in Loop: Header=BB2_174 Depth=2
	global_store_b64 v[96:97], v[17:18], off
	s_branch .LBB2_173
.LBB2_196:                              ;   in Loop: Header=BB2_32 Depth=1
	s_or_b32 exec_lo, exec_lo, s21
.LBB2_197:                              ;   in Loop: Header=BB2_32 Depth=1
	s_delay_alu instid0(SALU_CYCLE_1)
	s_or_b32 exec_lo, exec_lo, s20
	s_and_saveexec_b32 s10, s3
	s_cbranch_execz .LBB2_219
; %bb.198:                              ;   in Loop: Header=BB2_32 Depth=1
	s_and_saveexec_b32 s11, s4
	s_delay_alu instid0(SALU_CYCLE_1)
	s_xor_b32 s11, exec_lo, s11
	s_cbranch_execz .LBB2_216
; %bb.199:                              ;   in Loop: Header=BB2_32 Depth=1
	s_and_saveexec_b32 s12, s5
	s_cbranch_execz .LBB2_215
; %bb.200:                              ;   in Loop: Header=BB2_32 Depth=1
	s_mov_b32 s21, exec_lo
	s_mov_b32 s20, exec_lo
	v_mbcnt_lo_u32_b32 v17, s21, 0
	s_waitcnt vmcnt(0) lgkmcnt(0)
	s_waitcnt_vscnt null, 0x0
	buffer_gl1_inv
	buffer_gl0_inv
	v_cmpx_eq_u32_e32 0, v17
	s_cbranch_execz .LBB2_202
; %bb.201:                              ;   in Loop: Header=BB2_32 Depth=1
	s_bcnt1_i32_b32 s21, s21
	s_delay_alu instid0(SALU_CYCLE_1)
	v_dual_mov_b32 v18, v118 :: v_dual_mov_b32 v17, s21
	ds_add_u64 v0, v[17:18]
	s_cbranch_execnz .LBB2_288
.LBB2_202:                              ;   in Loop: Header=BB2_32 Depth=1
	s_or_b32 exec_lo, exec_lo, s20
	s_cbranch_execnz .LBB2_276
; %bb.203:                              ;   in Loop: Header=BB2_32 Depth=1
	ds_load_b64 v[17:18], v0
	v_add_co_u32 v2, vcc_lo, v2, v119
	v_add_co_ci_u32_e32 v3, vcc_lo, v3, v69, vcc_lo
	s_mov_b32 s20, exec_lo
	s_waitcnt lgkmcnt(0)
	s_delay_alu instid0(VALU_DEP_1)
	v_cmpx_lt_u64_e64 v[17:18], v[2:3]
	s_cbranch_execz .LBB2_214
; %bb.204:                              ;   in Loop: Header=BB2_32 Depth=1
	s_mov_b32 s21, 0
	s_mov_b32 s24, 0
                                        ; implicit-def: $sgpr22
                                        ; implicit-def: $sgpr23
	s_branch .LBB2_206
.LBB2_205:                              ;   in Loop: Header=BB2_206 Depth=2
	s_or_b32 exec_lo, exec_lo, s27
	s_delay_alu instid0(SALU_CYCLE_1) | instskip(NEXT) | instid1(SALU_CYCLE_1)
	s_and_b32 s25, exec_lo, s26
	s_or_b32 s21, s25, s21
	s_and_not1_b32 s22, s22, exec_lo
	s_and_b32 s25, s23, exec_lo
	s_delay_alu instid0(SALU_CYCLE_1)
	s_or_b32 s22, s22, s25
	s_and_not1_b32 exec_lo, exec_lo, s21
	s_cbranch_execz .LBB2_212
.LBB2_206:                              ;   Parent Loop BB2_32 Depth=1
                                        ; =>  This Inner Loop Header: Depth=2
	s_add_i32 s24, s24, 1
                                        ; implicit-def: $sgpr26
	s_delay_alu instid0(SALU_CYCLE_1) | instskip(SKIP_1) | instid1(SALU_CYCLE_1)
	s_cmpk_lg_i32 s24, 0x2710
	s_cselect_b32 s25, -1, 0
	s_and_b32 vcc_lo, exec_lo, s25
	s_cbranch_vccz .LBB2_210
.LBB2_207:                              ;   in Loop: Header=BB2_206 Depth=2
	s_and_not1_b32 s23, s23, exec_lo
	s_and_b32 s27, s26, exec_lo
	s_mov_b32 s26, -1
	s_or_b32 s23, s23, s27
	s_and_saveexec_b32 s27, s25
	s_cbranch_execz .LBB2_205
; %bb.208:                              ;   in Loop: Header=BB2_206 Depth=2
	s_sleep 1
	s_cbranch_execnz .LBB2_296
; %bb.209:                              ;   in Loop: Header=BB2_206 Depth=2
	ds_load_b64 v[17:18], v0
	s_and_not1_b32 s23, s23, exec_lo
	s_waitcnt lgkmcnt(0)
	v_cmp_ge_u64_e32 vcc_lo, v[17:18], v[2:3]
	s_or_not1_b32 s26, vcc_lo, exec_lo
	s_branch .LBB2_205
.LBB2_210:                              ;   in Loop: Header=BB2_206 Depth=2
	s_cbranch_execnz .LBB2_298
; %bb.211:                              ;   in Loop: Header=BB2_206 Depth=2
	ds_load_b64 v[17:18], v0
	s_and_not1_b32 s25, s25, exec_lo
	s_mov_b32 s24, 0
	s_mov_b32 s26, -1
	s_waitcnt lgkmcnt(0)
	flat_load_b32 v17, v[17:18] glc
	s_waitcnt vmcnt(0) lgkmcnt(0)
	buffer_gl1_inv
	buffer_gl0_inv
	v_cmp_eq_u32_e32 vcc_lo, 0, v17
	s_and_b32 s27, vcc_lo, exec_lo
	s_delay_alu instid0(SALU_CYCLE_1)
	s_or_b32 s25, s25, s27
	s_branch .LBB2_207
.LBB2_212:                              ;   in Loop: Header=BB2_32 Depth=1
	s_or_b32 exec_lo, exec_lo, s21
	s_and_saveexec_b32 s21, s22
	s_delay_alu instid0(SALU_CYCLE_1)
	s_xor_b32 s21, exec_lo, s21
	s_cbranch_execz .LBB2_214
; %bb.213:                              ;   in Loop: Header=BB2_32 Depth=1
	ds_store_b32 v0, v71
	s_cbranch_execnz .LBB2_315
.LBB2_214:                              ;   in Loop: Header=BB2_32 Depth=1
	s_or_b32 exec_lo, exec_lo, s20
	;;#ASMSTART
	s_wakeup
	;;#ASMEND
.LBB2_215:                              ;   in Loop: Header=BB2_32 Depth=1
	s_or_b32 exec_lo, exec_lo, s12
.LBB2_216:                              ;   in Loop: Header=BB2_32 Depth=1
	s_and_not1_saveexec_b32 s11, s11
	s_cbranch_execz .LBB2_218
; %bb.217:                              ;   in Loop: Header=BB2_32 Depth=1
	s_waitcnt vmcnt(0) lgkmcnt(0)
	s_waitcnt_vscnt null, 0x0
	buffer_gl1_inv
	buffer_gl0_inv
	s_barrier
.LBB2_218:                              ;   in Loop: Header=BB2_32 Depth=1
	s_or_b32 exec_lo, exec_lo, s11
.LBB2_219:                              ;   in Loop: Header=BB2_32 Depth=1
	s_delay_alu instid0(SALU_CYCLE_1)
	s_or_b32 exec_lo, exec_lo, s10
	s_and_saveexec_b32 s10, s7
	s_cbranch_execz .LBB2_221
; %bb.220:                              ;   in Loop: Header=BB2_32 Depth=1
	v_add_co_u32 v48, vcc_lo, v48, 1
	v_add_co_ci_u32_e32 v49, vcc_lo, 0, v49, vcc_lo
	s_waitcnt vmcnt(0) lgkmcnt(0)
	s_waitcnt_vscnt null, 0x0
	flat_store_b64 v[36:37], v[48:49]
.LBB2_221:                              ;   in Loop: Header=BB2_32 Depth=1
	s_or_b32 exec_lo, exec_lo, s10
	v_add_co_u32 v82, vcc_lo, v82, v54
	v_add_co_ci_u32_e32 v83, vcc_lo, 0, v83, vcc_lo
	v_add_co_u32 v32, vcc_lo, v32, 1
	v_add_co_ci_u32_e32 v33, vcc_lo, 0, v33, vcc_lo
	s_delay_alu instid0(VALU_DEP_3) | instskip(SKIP_1) | instid1(VALU_DEP_1)
	v_cmp_ge_u64_e32 vcc_lo, v[82:83], v[7:8]
	v_add_co_u32 v9, s10, v9, v134
	v_add_co_ci_u32_e64 v10, s10, 0, v10, s10
	s_or_b32 s18, vcc_lo, s18
	s_delay_alu instid0(SALU_CYCLE_1)
	s_and_not1_b32 exec_lo, exec_lo, s18
	s_cbranch_execnz .LBB2_32
; %bb.222:
	s_or_b32 exec_lo, exec_lo, s18
.LBB2_223:
	s_delay_alu instid0(SALU_CYCLE_1)
	s_or_b32 exec_lo, exec_lo, s16
	s_and_saveexec_b32 s1, s13
	s_cbranch_execz .LBB2_225
; %bb.224:
	s_waitcnt vmcnt(0) lgkmcnt(0)
	flat_store_b64 v[27:28], v[48:49] offset:104
.LBB2_225:
	s_or_b32 exec_lo, exec_lo, s1
	s_and_saveexec_b32 s1, s0
	s_cbranch_execz .LBB2_227
; %bb.226:
	s_waitcnt vmcnt(0) lgkmcnt(0)
	flat_store_b64 v[34:35], v[15:16] offset:104
.LBB2_227:
	s_or_b32 exec_lo, exec_lo, s1
	s_delay_alu instid0(SALU_CYCLE_1)
	s_mov_b32 s0, exec_lo
	v_cmpx_ne_u32_e32 32, v1
	s_cbranch_execz .LBB2_306
; %bb.228:
	s_mov_b32 s1, exec_lo
	v_cmpx_ne_u32_e64 v0, v1
	s_xor_b32 s1, exec_lo, s1
	s_cbranch_execz .LBB2_304
; %bb.229:
	v_and_b32_e32 v0, 31, v31
	s_mov_b32 s2, exec_lo
	s_delay_alu instid0(VALU_DEP_1)
	v_cmpx_eq_u32_e32 0, v0
	s_cbranch_execz .LBB2_303
; %bb.230:
	s_mov_b32 s4, exec_lo
	s_mov_b32 s3, exec_lo
	v_mbcnt_lo_u32_b32 v0, s4, 0
	s_waitcnt vmcnt(0) lgkmcnt(0)
	s_waitcnt_vscnt null, 0x0
	buffer_gl1_inv
	buffer_gl0_inv
	v_cmpx_eq_u32_e32 0, v0
	s_cbranch_execz .LBB2_232
; %bb.231:
	s_bcnt1_i32_b32 s4, s4
	s_delay_alu instid0(SALU_CYCLE_1)
	v_dual_mov_b32 v5, 0 :: v_dual_mov_b32 v4, s4
	ds_add_u64 v0, v[4:5]
	s_cbranch_execnz .LBB2_264
.LBB2_232:
	s_or_b32 exec_lo, exec_lo, s3
	s_cbranch_execnz .LBB2_249
; %bb.233:
	v_ashrrev_i32_e32 v0, 31, v1
	s_mov_b32 s3, exec_lo
	s_delay_alu instid0(VALU_DEP_1) | instskip(NEXT) | instid1(VALU_DEP_1)
	v_lshrrev_b32_e32 v0, 27, v0
	v_add_nc_u32_e32 v0, v1, v0
	ds_load_b64 v[4:5], v0
	v_ashrrev_i32_e32 v0, 5, v0
	s_delay_alu instid0(VALU_DEP_1) | instskip(SKIP_1) | instid1(VALU_DEP_2)
	v_ashrrev_i32_e32 v1, 31, v0
	v_add_co_u32 v0, vcc_lo, v2, v0
	v_add_co_ci_u32_e32 v1, vcc_lo, v3, v1, vcc_lo
	s_waitcnt lgkmcnt(0)
	s_delay_alu instid0(VALU_DEP_1)
	v_cmpx_lt_u64_e64 v[4:5], v[0:1]
	s_cbranch_execz .LBB2_302
; %bb.234:
	s_mov_b32 s4, 0
	s_mov_b32 s7, 0
                                        ; implicit-def: $sgpr5
                                        ; implicit-def: $sgpr6
	s_branch .LBB2_254
.LBB2_235:
	s_trap 2
	s_sendmsg_rtn_b32 s0, sendmsg(MSG_RTN_GET_DOORBELL)
	s_mov_b32 ttmp2, m0
	s_waitcnt lgkmcnt(0)
	s_and_b32 s0, s0, 0x3ff
	s_delay_alu instid0(SALU_CYCLE_1) | instskip(NEXT) | instid1(SALU_CYCLE_1)
	s_bitset1_b32 s0, 10
	s_mov_b32 m0, s0
	s_sendmsg sendmsg(MSG_INTERRUPT)
	s_mov_b32 m0, ttmp2
.LBB2_236:                              ; =>This Inner Loop Header: Depth=1
	s_sethalt 5
	s_branch .LBB2_236
.LBB2_237:
	s_trap 2
	s_sendmsg_rtn_b32 s0, sendmsg(MSG_RTN_GET_DOORBELL)
	s_mov_b32 ttmp2, m0
	s_waitcnt lgkmcnt(0)
	s_and_b32 s0, s0, 0x3ff
	s_delay_alu instid0(SALU_CYCLE_1) | instskip(NEXT) | instid1(SALU_CYCLE_1)
	s_bitset1_b32 s0, 10
	s_mov_b32 m0, s0
	s_sendmsg sendmsg(MSG_INTERRUPT)
	s_mov_b32 m0, ttmp2
.LBB2_238:                              ; =>This Inner Loop Header: Depth=1
	s_sethalt 5
	s_branch .LBB2_238
.LBB2_239:
	s_trap 2
	s_sendmsg_rtn_b32 s0, sendmsg(MSG_RTN_GET_DOORBELL)
	s_mov_b32 ttmp2, m0
	s_waitcnt lgkmcnt(0)
	s_and_b32 s0, s0, 0x3ff
	s_delay_alu instid0(SALU_CYCLE_1) | instskip(NEXT) | instid1(SALU_CYCLE_1)
	s_bitset1_b32 s0, 10
	s_mov_b32 m0, s0
	s_sendmsg sendmsg(MSG_INTERRUPT)
	s_mov_b32 m0, ttmp2
.LBB2_240:                              ; =>This Inner Loop Header: Depth=1
	s_sethalt 5
	s_branch .LBB2_240
.LBB2_241:
	s_trap 2
	s_sendmsg_rtn_b32 s0, sendmsg(MSG_RTN_GET_DOORBELL)
	s_mov_b32 ttmp2, m0
	s_waitcnt lgkmcnt(0)
	s_and_b32 s0, s0, 0x3ff
	s_delay_alu instid0(SALU_CYCLE_1) | instskip(NEXT) | instid1(SALU_CYCLE_1)
	s_bitset1_b32 s0, 10
	s_mov_b32 m0, s0
	s_sendmsg sendmsg(MSG_INTERRUPT)
	s_mov_b32 m0, ttmp2
.LBB2_242:                              ; =>This Inner Loop Header: Depth=1
	s_sethalt 5
	s_branch .LBB2_242
.LBB2_243:
	s_trap 2
	s_sendmsg_rtn_b32 s0, sendmsg(MSG_RTN_GET_DOORBELL)
	s_mov_b32 ttmp2, m0
	s_waitcnt lgkmcnt(0)
	s_and_b32 s0, s0, 0x3ff
	s_delay_alu instid0(SALU_CYCLE_1) | instskip(NEXT) | instid1(SALU_CYCLE_1)
	s_bitset1_b32 s0, 10
	s_mov_b32 m0, s0
	s_sendmsg sendmsg(MSG_INTERRUPT)
	s_mov_b32 m0, ttmp2
.LBB2_244:                              ; =>This Inner Loop Header: Depth=1
	s_sethalt 5
	s_branch .LBB2_244
.LBB2_245:
	s_trap 2
	s_sendmsg_rtn_b32 s0, sendmsg(MSG_RTN_GET_DOORBELL)
	s_mov_b32 ttmp2, m0
	s_waitcnt lgkmcnt(0)
	s_and_b32 s0, s0, 0x3ff
	s_delay_alu instid0(SALU_CYCLE_1) | instskip(NEXT) | instid1(SALU_CYCLE_1)
	s_bitset1_b32 s0, 10
	s_mov_b32 m0, s0
	s_sendmsg sendmsg(MSG_INTERRUPT)
	s_mov_b32 m0, ttmp2
.LBB2_246:                              ; =>This Inner Loop Header: Depth=1
	s_sethalt 5
	s_branch .LBB2_246
.LBB2_247:
	s_trap 2
	s_sendmsg_rtn_b32 s0, sendmsg(MSG_RTN_GET_DOORBELL)
	s_mov_b32 ttmp2, m0
	s_waitcnt lgkmcnt(0)
	s_and_b32 s0, s0, 0x3ff
	s_delay_alu instid0(SALU_CYCLE_1) | instskip(NEXT) | instid1(SALU_CYCLE_1)
	s_bitset1_b32 s0, 10
	s_mov_b32 m0, s0
	s_sendmsg sendmsg(MSG_INTERRUPT)
	s_mov_b32 m0, ttmp2
.LBB2_248:                              ; =>This Inner Loop Header: Depth=1
	s_sethalt 5
	s_branch .LBB2_248
.LBB2_249:
	s_trap 2
	s_sendmsg_rtn_b32 s0, sendmsg(MSG_RTN_GET_DOORBELL)
	s_mov_b32 ttmp2, m0
	s_waitcnt lgkmcnt(0)
	s_and_b32 s0, s0, 0x3ff
	s_delay_alu instid0(SALU_CYCLE_1) | instskip(NEXT) | instid1(SALU_CYCLE_1)
	s_bitset1_b32 s0, 10
	s_mov_b32 m0, s0
	s_sendmsg sendmsg(MSG_INTERRUPT)
	s_mov_b32 m0, ttmp2
.LBB2_250:                              ; =>This Inner Loop Header: Depth=1
	s_sethalt 5
	s_branch .LBB2_250
.LBB2_251:
	s_trap 2
	s_sendmsg_rtn_b32 s0, sendmsg(MSG_RTN_GET_DOORBELL)
	s_mov_b32 ttmp2, m0
	s_waitcnt lgkmcnt(0)
	s_and_b32 s0, s0, 0x3ff
	s_delay_alu instid0(SALU_CYCLE_1) | instskip(NEXT) | instid1(SALU_CYCLE_1)
	s_bitset1_b32 s0, 10
	s_mov_b32 m0, s0
	s_sendmsg sendmsg(MSG_INTERRUPT)
	s_mov_b32 m0, ttmp2
.LBB2_252:                              ; =>This Inner Loop Header: Depth=1
	s_sethalt 5
	s_branch .LBB2_252
.LBB2_253:                              ;   in Loop: Header=BB2_254 Depth=1
	s_or_b32 exec_lo, exec_lo, s10
	s_delay_alu instid0(SALU_CYCLE_1) | instskip(NEXT) | instid1(SALU_CYCLE_1)
	s_and_b32 s8, exec_lo, s9
	s_or_b32 s4, s8, s4
	s_and_not1_b32 s5, s5, exec_lo
	s_and_b32 s8, s6, exec_lo
	s_delay_alu instid0(SALU_CYCLE_1)
	s_or_b32 s5, s5, s8
	s_and_not1_b32 exec_lo, exec_lo, s4
	s_cbranch_execz .LBB2_300
.LBB2_254:                              ; =>This Inner Loop Header: Depth=1
	s_add_i32 s7, s7, 1
                                        ; implicit-def: $sgpr9
	s_delay_alu instid0(SALU_CYCLE_1) | instskip(SKIP_1) | instid1(SALU_CYCLE_1)
	s_cmpk_lg_i32 s7, 0x2710
	s_cselect_b32 s8, -1, 0
	s_and_b32 vcc_lo, exec_lo, s8
	s_cbranch_vccz .LBB2_258
.LBB2_255:                              ;   in Loop: Header=BB2_254 Depth=1
	s_and_not1_b32 s6, s6, exec_lo
	s_and_b32 s10, s9, exec_lo
	s_mov_b32 s9, -1
	s_or_b32 s6, s6, s10
	s_and_saveexec_b32 s10, s8
	s_cbranch_execz .LBB2_253
; %bb.256:                              ;   in Loop: Header=BB2_254 Depth=1
	s_sleep 1
	s_cbranch_execnz .LBB2_278
; %bb.257:                              ;   in Loop: Header=BB2_254 Depth=1
	ds_load_b64 v[2:3], v0
	s_and_not1_b32 s6, s6, exec_lo
	s_waitcnt lgkmcnt(0)
	v_cmp_ge_u64_e32 vcc_lo, v[2:3], v[0:1]
	s_or_not1_b32 s9, vcc_lo, exec_lo
	s_branch .LBB2_253
.LBB2_258:                              ;   in Loop: Header=BB2_254 Depth=1
	s_cbranch_execnz .LBB2_284
; %bb.259:                              ;   in Loop: Header=BB2_254 Depth=1
	ds_load_b64 v[2:3], v0
	s_and_not1_b32 s8, s8, exec_lo
	s_mov_b32 s7, 0
	s_mov_b32 s9, -1
	s_waitcnt lgkmcnt(0)
	flat_load_b32 v2, v[2:3] glc
	s_waitcnt vmcnt(0) lgkmcnt(0)
	buffer_gl1_inv
	buffer_gl0_inv
	v_cmp_eq_u32_e32 vcc_lo, 0, v2
	s_and_b32 s10, vcc_lo, exec_lo
	s_delay_alu instid0(SALU_CYCLE_1)
	s_or_b32 s8, s8, s10
	s_branch .LBB2_255
.LBB2_260:
	s_trap 2
	s_sendmsg_rtn_b32 s0, sendmsg(MSG_RTN_GET_DOORBELL)
	s_mov_b32 ttmp2, m0
	s_waitcnt lgkmcnt(0)
	s_and_b32 s0, s0, 0x3ff
	s_delay_alu instid0(SALU_CYCLE_1) | instskip(NEXT) | instid1(SALU_CYCLE_1)
	s_bitset1_b32 s0, 10
	s_mov_b32 m0, s0
	s_sendmsg sendmsg(MSG_INTERRUPT)
	s_mov_b32 m0, ttmp2
.LBB2_261:                              ; =>This Inner Loop Header: Depth=1
	s_sethalt 5
	s_branch .LBB2_261
.LBB2_262:
	s_trap 2
	s_sendmsg_rtn_b32 s0, sendmsg(MSG_RTN_GET_DOORBELL)
	s_mov_b32 ttmp2, m0
	s_waitcnt lgkmcnt(0)
	s_and_b32 s0, s0, 0x3ff
	s_delay_alu instid0(SALU_CYCLE_1) | instskip(NEXT) | instid1(SALU_CYCLE_1)
	s_bitset1_b32 s0, 10
	s_mov_b32 m0, s0
	s_sendmsg sendmsg(MSG_INTERRUPT)
	s_mov_b32 m0, ttmp2
.LBB2_263:                              ; =>This Inner Loop Header: Depth=1
	s_sethalt 5
	s_branch .LBB2_263
.LBB2_264:
	s_trap 2
	s_sendmsg_rtn_b32 s0, sendmsg(MSG_RTN_GET_DOORBELL)
	s_mov_b32 ttmp2, m0
	s_waitcnt lgkmcnt(0)
	s_and_b32 s0, s0, 0x3ff
	s_delay_alu instid0(SALU_CYCLE_1) | instskip(NEXT) | instid1(SALU_CYCLE_1)
	s_bitset1_b32 s0, 10
	s_mov_b32 m0, s0
	s_sendmsg sendmsg(MSG_INTERRUPT)
	s_mov_b32 m0, ttmp2
.LBB2_265:                              ; =>This Inner Loop Header: Depth=1
	s_sethalt 5
	s_branch .LBB2_265
.LBB2_266:
	s_trap 2
	s_sendmsg_rtn_b32 s0, sendmsg(MSG_RTN_GET_DOORBELL)
	s_mov_b32 ttmp2, m0
	s_waitcnt lgkmcnt(0)
	s_and_b32 s0, s0, 0x3ff
	s_delay_alu instid0(SALU_CYCLE_1) | instskip(NEXT) | instid1(SALU_CYCLE_1)
	s_bitset1_b32 s0, 10
	s_mov_b32 m0, s0
	s_sendmsg sendmsg(MSG_INTERRUPT)
	s_mov_b32 m0, ttmp2
.LBB2_267:                              ; =>This Inner Loop Header: Depth=1
	s_sethalt 5
	s_branch .LBB2_267
.LBB2_268:
	s_trap 2
	s_sendmsg_rtn_b32 s0, sendmsg(MSG_RTN_GET_DOORBELL)
	s_mov_b32 ttmp2, m0
	s_waitcnt lgkmcnt(0)
	s_and_b32 s0, s0, 0x3ff
	s_delay_alu instid0(SALU_CYCLE_1) | instskip(NEXT) | instid1(SALU_CYCLE_1)
	s_bitset1_b32 s0, 10
	s_mov_b32 m0, s0
	s_sendmsg sendmsg(MSG_INTERRUPT)
	s_mov_b32 m0, ttmp2
.LBB2_269:                              ; =>This Inner Loop Header: Depth=1
	s_sethalt 5
	s_branch .LBB2_269
.LBB2_270:
	s_trap 2
	s_sendmsg_rtn_b32 s0, sendmsg(MSG_RTN_GET_DOORBELL)
	s_mov_b32 ttmp2, m0
	s_waitcnt lgkmcnt(0)
	s_and_b32 s0, s0, 0x3ff
	s_delay_alu instid0(SALU_CYCLE_1) | instskip(NEXT) | instid1(SALU_CYCLE_1)
	s_bitset1_b32 s0, 10
	s_mov_b32 m0, s0
	s_sendmsg sendmsg(MSG_INTERRUPT)
	s_mov_b32 m0, ttmp2
.LBB2_271:                              ; =>This Inner Loop Header: Depth=1
	s_sethalt 5
	s_branch .LBB2_271
.LBB2_272:
	s_trap 2
	s_sendmsg_rtn_b32 s0, sendmsg(MSG_RTN_GET_DOORBELL)
	s_mov_b32 ttmp2, m0
	s_waitcnt lgkmcnt(0)
	s_and_b32 s0, s0, 0x3ff
	s_delay_alu instid0(SALU_CYCLE_1) | instskip(NEXT) | instid1(SALU_CYCLE_1)
	s_bitset1_b32 s0, 10
	s_mov_b32 m0, s0
	s_sendmsg sendmsg(MSG_INTERRUPT)
	s_mov_b32 m0, ttmp2
.LBB2_273:                              ; =>This Inner Loop Header: Depth=1
	s_sethalt 5
	s_branch .LBB2_273
.LBB2_274:
	s_trap 2
	s_sendmsg_rtn_b32 s0, sendmsg(MSG_RTN_GET_DOORBELL)
	s_mov_b32 ttmp2, m0
	s_waitcnt lgkmcnt(0)
	s_and_b32 s0, s0, 0x3ff
	s_delay_alu instid0(SALU_CYCLE_1) | instskip(NEXT) | instid1(SALU_CYCLE_1)
	s_bitset1_b32 s0, 10
	s_mov_b32 m0, s0
	s_sendmsg sendmsg(MSG_INTERRUPT)
	s_mov_b32 m0, ttmp2
.LBB2_275:                              ; =>This Inner Loop Header: Depth=1
	s_sethalt 5
	s_branch .LBB2_275
.LBB2_276:
	s_trap 2
	s_sendmsg_rtn_b32 s0, sendmsg(MSG_RTN_GET_DOORBELL)
	s_mov_b32 ttmp2, m0
	s_waitcnt lgkmcnt(0)
	s_and_b32 s0, s0, 0x3ff
	s_delay_alu instid0(SALU_CYCLE_1) | instskip(NEXT) | instid1(SALU_CYCLE_1)
	s_bitset1_b32 s0, 10
	s_mov_b32 m0, s0
	s_sendmsg sendmsg(MSG_INTERRUPT)
	s_mov_b32 m0, ttmp2
.LBB2_277:                              ; =>This Inner Loop Header: Depth=1
	s_sethalt 5
	s_branch .LBB2_277
.LBB2_278:
	s_trap 2
	s_sendmsg_rtn_b32 s0, sendmsg(MSG_RTN_GET_DOORBELL)
	s_mov_b32 ttmp2, m0
	s_waitcnt lgkmcnt(0)
	s_and_b32 s0, s0, 0x3ff
	s_delay_alu instid0(SALU_CYCLE_1) | instskip(NEXT) | instid1(SALU_CYCLE_1)
	s_bitset1_b32 s0, 10
	s_mov_b32 m0, s0
	s_sendmsg sendmsg(MSG_INTERRUPT)
	s_mov_b32 m0, ttmp2
.LBB2_279:                              ; =>This Inner Loop Header: Depth=1
	s_sethalt 5
	s_branch .LBB2_279
.LBB2_280:
	s_trap 2
	s_sendmsg_rtn_b32 s0, sendmsg(MSG_RTN_GET_DOORBELL)
	s_mov_b32 ttmp2, m0
	s_waitcnt lgkmcnt(0)
	s_and_b32 s0, s0, 0x3ff
	s_delay_alu instid0(SALU_CYCLE_1) | instskip(NEXT) | instid1(SALU_CYCLE_1)
	s_bitset1_b32 s0, 10
	s_mov_b32 m0, s0
	s_sendmsg sendmsg(MSG_INTERRUPT)
	s_mov_b32 m0, ttmp2
.LBB2_281:                              ; =>This Inner Loop Header: Depth=1
	s_sethalt 5
	s_branch .LBB2_281
.LBB2_282:
	s_trap 2
	s_sendmsg_rtn_b32 s0, sendmsg(MSG_RTN_GET_DOORBELL)
	s_mov_b32 ttmp2, m0
	s_waitcnt lgkmcnt(0)
	s_and_b32 s0, s0, 0x3ff
	s_delay_alu instid0(SALU_CYCLE_1) | instskip(NEXT) | instid1(SALU_CYCLE_1)
	s_bitset1_b32 s0, 10
	s_mov_b32 m0, s0
	s_sendmsg sendmsg(MSG_INTERRUPT)
	s_mov_b32 m0, ttmp2
.LBB2_283:                              ; =>This Inner Loop Header: Depth=1
	s_sethalt 5
	s_branch .LBB2_283
.LBB2_284:
	s_trap 2
	s_sendmsg_rtn_b32 s0, sendmsg(MSG_RTN_GET_DOORBELL)
	s_mov_b32 ttmp2, m0
	s_waitcnt lgkmcnt(0)
	s_and_b32 s0, s0, 0x3ff
	s_delay_alu instid0(SALU_CYCLE_1) | instskip(NEXT) | instid1(SALU_CYCLE_1)
	s_bitset1_b32 s0, 10
	s_mov_b32 m0, s0
	s_sendmsg sendmsg(MSG_INTERRUPT)
	s_mov_b32 m0, ttmp2
.LBB2_285:                              ; =>This Inner Loop Header: Depth=1
	s_sethalt 5
	s_branch .LBB2_285
.LBB2_286:
	s_trap 2
	s_sendmsg_rtn_b32 s0, sendmsg(MSG_RTN_GET_DOORBELL)
	s_mov_b32 ttmp2, m0
	s_waitcnt lgkmcnt(0)
	s_and_b32 s0, s0, 0x3ff
	s_delay_alu instid0(SALU_CYCLE_1) | instskip(NEXT) | instid1(SALU_CYCLE_1)
	s_bitset1_b32 s0, 10
	s_mov_b32 m0, s0
	s_sendmsg sendmsg(MSG_INTERRUPT)
	s_mov_b32 m0, ttmp2
.LBB2_287:                              ; =>This Inner Loop Header: Depth=1
	s_sethalt 5
	s_branch .LBB2_287
.LBB2_288:
	s_trap 2
	s_sendmsg_rtn_b32 s0, sendmsg(MSG_RTN_GET_DOORBELL)
	s_mov_b32 ttmp2, m0
	s_waitcnt lgkmcnt(0)
	s_and_b32 s0, s0, 0x3ff
	s_delay_alu instid0(SALU_CYCLE_1) | instskip(NEXT) | instid1(SALU_CYCLE_1)
	s_bitset1_b32 s0, 10
	s_mov_b32 m0, s0
	s_sendmsg sendmsg(MSG_INTERRUPT)
	s_mov_b32 m0, ttmp2
.LBB2_289:                              ; =>This Inner Loop Header: Depth=1
	s_sethalt 5
	s_branch .LBB2_289
.LBB2_290:
	s_trap 2
	s_sendmsg_rtn_b32 s0, sendmsg(MSG_RTN_GET_DOORBELL)
	s_mov_b32 ttmp2, m0
	s_waitcnt lgkmcnt(0)
	s_and_b32 s0, s0, 0x3ff
	s_delay_alu instid0(SALU_CYCLE_1) | instskip(NEXT) | instid1(SALU_CYCLE_1)
	s_bitset1_b32 s0, 10
	s_mov_b32 m0, s0
	s_sendmsg sendmsg(MSG_INTERRUPT)
	s_mov_b32 m0, ttmp2
.LBB2_291:                              ; =>This Inner Loop Header: Depth=1
	s_sethalt 5
	s_branch .LBB2_291
.LBB2_292:
	s_trap 2
	s_sendmsg_rtn_b32 s0, sendmsg(MSG_RTN_GET_DOORBELL)
	s_mov_b32 ttmp2, m0
	s_waitcnt lgkmcnt(0)
	s_and_b32 s0, s0, 0x3ff
	s_delay_alu instid0(SALU_CYCLE_1) | instskip(NEXT) | instid1(SALU_CYCLE_1)
	s_bitset1_b32 s0, 10
	s_mov_b32 m0, s0
	s_sendmsg sendmsg(MSG_INTERRUPT)
	s_mov_b32 m0, ttmp2
.LBB2_293:                              ; =>This Inner Loop Header: Depth=1
	s_sethalt 5
	s_branch .LBB2_293
.LBB2_294:
	s_trap 2
	s_sendmsg_rtn_b32 s0, sendmsg(MSG_RTN_GET_DOORBELL)
	s_mov_b32 ttmp2, m0
	s_waitcnt lgkmcnt(0)
	s_and_b32 s0, s0, 0x3ff
	s_delay_alu instid0(SALU_CYCLE_1) | instskip(NEXT) | instid1(SALU_CYCLE_1)
	s_bitset1_b32 s0, 10
	s_mov_b32 m0, s0
	s_sendmsg sendmsg(MSG_INTERRUPT)
	s_mov_b32 m0, ttmp2
.LBB2_295:                              ; =>This Inner Loop Header: Depth=1
	s_sethalt 5
	s_branch .LBB2_295
.LBB2_296:
	s_trap 2
	s_sendmsg_rtn_b32 s0, sendmsg(MSG_RTN_GET_DOORBELL)
	s_mov_b32 ttmp2, m0
	s_waitcnt lgkmcnt(0)
	s_and_b32 s0, s0, 0x3ff
	s_delay_alu instid0(SALU_CYCLE_1) | instskip(NEXT) | instid1(SALU_CYCLE_1)
	s_bitset1_b32 s0, 10
	s_mov_b32 m0, s0
	s_sendmsg sendmsg(MSG_INTERRUPT)
	s_mov_b32 m0, ttmp2
.LBB2_297:                              ; =>This Inner Loop Header: Depth=1
	s_sethalt 5
	s_branch .LBB2_297
.LBB2_298:
	s_trap 2
	s_sendmsg_rtn_b32 s0, sendmsg(MSG_RTN_GET_DOORBELL)
	s_mov_b32 ttmp2, m0
	s_waitcnt lgkmcnt(0)
	s_and_b32 s0, s0, 0x3ff
	s_delay_alu instid0(SALU_CYCLE_1) | instskip(NEXT) | instid1(SALU_CYCLE_1)
	s_bitset1_b32 s0, 10
	s_mov_b32 m0, s0
	s_sendmsg sendmsg(MSG_INTERRUPT)
	s_mov_b32 m0, ttmp2
.LBB2_299:                              ; =>This Inner Loop Header: Depth=1
	s_sethalt 5
	s_branch .LBB2_299
.LBB2_300:
	s_or_b32 exec_lo, exec_lo, s4
	s_and_saveexec_b32 s4, s5
	s_delay_alu instid0(SALU_CYCLE_1)
	s_xor_b32 s4, exec_lo, s4
	s_cbranch_execz .LBB2_302
; %bb.301:
	v_mov_b32_e32 v0, 1
	ds_store_b32 v0, v0
	s_cbranch_execnz .LBB2_309
.LBB2_302:
	s_or_b32 exec_lo, exec_lo, s3
	;;#ASMSTART
	s_wakeup
	;;#ASMEND
.LBB2_303:
	s_or_b32 exec_lo, exec_lo, s2
.LBB2_304:
	s_and_not1_saveexec_b32 s1, s1
	s_cbranch_execz .LBB2_306
; %bb.305:
	s_waitcnt vmcnt(0) lgkmcnt(0)
	s_waitcnt_vscnt null, 0x0
	buffer_gl1_inv
	buffer_gl0_inv
	s_barrier
.LBB2_306:
	s_or_b32 exec_lo, exec_lo, s0
	s_waitcnt vmcnt(0) lgkmcnt(0)
	s_setpc_b64 s[30:31]
.LBB2_307:
	s_trap 2
	s_sendmsg_rtn_b32 s0, sendmsg(MSG_RTN_GET_DOORBELL)
	s_mov_b32 ttmp2, m0
	s_waitcnt lgkmcnt(0)
	s_and_b32 s0, s0, 0x3ff
	s_delay_alu instid0(SALU_CYCLE_1) | instskip(NEXT) | instid1(SALU_CYCLE_1)
	s_bitset1_b32 s0, 10
	s_mov_b32 m0, s0
	s_sendmsg sendmsg(MSG_INTERRUPT)
	s_mov_b32 m0, ttmp2
.LBB2_308:                              ; =>This Inner Loop Header: Depth=1
	s_sethalt 5
	s_branch .LBB2_308
.LBB2_309:
	s_trap 2
	s_sendmsg_rtn_b32 s0, sendmsg(MSG_RTN_GET_DOORBELL)
	s_mov_b32 ttmp2, m0
	s_waitcnt lgkmcnt(0)
	s_and_b32 s0, s0, 0x3ff
	s_delay_alu instid0(SALU_CYCLE_1) | instskip(NEXT) | instid1(SALU_CYCLE_1)
	s_bitset1_b32 s0, 10
	s_mov_b32 m0, s0
	s_sendmsg sendmsg(MSG_INTERRUPT)
	s_mov_b32 m0, ttmp2
.LBB2_310:                              ; =>This Inner Loop Header: Depth=1
	s_sethalt 5
	s_branch .LBB2_310
.LBB2_311:
	s_trap 2
	s_sendmsg_rtn_b32 s0, sendmsg(MSG_RTN_GET_DOORBELL)
	s_mov_b32 ttmp2, m0
	s_waitcnt lgkmcnt(0)
	s_and_b32 s0, s0, 0x3ff
	s_delay_alu instid0(SALU_CYCLE_1) | instskip(NEXT) | instid1(SALU_CYCLE_1)
	s_bitset1_b32 s0, 10
	s_mov_b32 m0, s0
	s_sendmsg sendmsg(MSG_INTERRUPT)
	s_mov_b32 m0, ttmp2
.LBB2_312:                              ; =>This Inner Loop Header: Depth=1
	s_sethalt 5
	s_branch .LBB2_312
.LBB2_313:
	s_trap 2
	s_sendmsg_rtn_b32 s0, sendmsg(MSG_RTN_GET_DOORBELL)
	s_mov_b32 ttmp2, m0
	s_waitcnt lgkmcnt(0)
	s_and_b32 s0, s0, 0x3ff
	s_delay_alu instid0(SALU_CYCLE_1) | instskip(NEXT) | instid1(SALU_CYCLE_1)
	s_bitset1_b32 s0, 10
	s_mov_b32 m0, s0
	s_sendmsg sendmsg(MSG_INTERRUPT)
	s_mov_b32 m0, ttmp2
.LBB2_314:                              ; =>This Inner Loop Header: Depth=1
	s_sethalt 5
	s_branch .LBB2_314
.LBB2_315:
	s_trap 2
	s_sendmsg_rtn_b32 s0, sendmsg(MSG_RTN_GET_DOORBELL)
	s_mov_b32 ttmp2, m0
	s_waitcnt lgkmcnt(0)
	s_and_b32 s0, s0, 0x3ff
	s_delay_alu instid0(SALU_CYCLE_1) | instskip(NEXT) | instid1(SALU_CYCLE_1)
	s_bitset1_b32 s0, 10
	s_mov_b32 m0, s0
	s_sendmsg sendmsg(MSG_INTERRUPT)
	s_mov_b32 m0, ttmp2
.LBB2_316:                              ; =>This Inner Loop Header: Depth=1
	s_sethalt 5
	s_branch .LBB2_316
.Lfunc_end2:
	.size	_ZN12_GLOBAL__N_17runRingIf10FuncMinMaxIfE7ProtoLLLi0ELi2ELi0EEEviiP15ncclDevWorkColl, .Lfunc_end2-_ZN12_GLOBAL__N_17runRingIf10FuncMinMaxIfE7ProtoLLLi0ELi2ELi0EEEviiP15ncclDevWorkColl
                                        ; -- End function
	.section	.AMDGPU.csdata,"",@progbits
; Function info:
; codeLenInByte = 9608
; NumSgprs: 34
; NumVgprs: 166
; ScratchSize: 0
; MemoryBound: 0
	.text
	.p2align	2                               ; -- Begin function _Z50ncclDevFunc_ReduceScatter_RING_LL_MinMax_f32_0_0_2v
	.type	_Z50ncclDevFunc_ReduceScatter_RING_LL_MinMax_f32_0_0_2v,@function
_Z50ncclDevFunc_ReduceScatter_RING_LL_MinMax_f32_0_0_2v: ; @_Z50ncclDevFunc_ReduceScatter_RING_LL_MinMax_f32_0_0_2v
; %bb.0:
	s_waitcnt vmcnt(0) expcnt(0) lgkmcnt(0)
	s_mov_b32 s0, s33
	s_mov_b32 s33, s32
	s_or_saveexec_b32 s1, -1
	scratch_store_b32 off, v40, s33         ; 4-byte Folded Spill
	s_mov_b32 exec_lo, s1
	v_writelane_b32 v40, s0, 8
	s_add_i32 s32, s32, 16
	v_writelane_b32 v40, s34, 0
	v_writelane_b32 v40, s35, 1
	;; [unrolled: 1-line block ×8, first 2 shown]
	s_cbranch_execnz .LBB3_7
; %bb.1:
	ds_load_b32 v2, v0
	v_and_b32_e32 v166, 0x3ff, v31
	s_mov_b32 s0, exec_lo
	s_waitcnt lgkmcnt(0)
	s_delay_alu instid0(VALU_DEP_1)
	v_cmpx_lt_i32_e64 v166, v2
	s_cbranch_execz .LBB3_9
; %bb.2:
	s_load_b32 s1, s[8:9], 0x0
	v_mov_b32_e32 v1, 0
	s_waitcnt lgkmcnt(0)
	s_cmp_lt_u32 s12, s1
	s_cselect_b32 s1, 12, 18
	s_delay_alu instid0(SALU_CYCLE_1)
	s_add_u32 s2, s8, s1
	s_addc_u32 s3, s9, 0
	s_mov_b32 s1, 0
	global_load_u16 v3, v1, s[2:3]
	s_cbranch_execnz .LBB3_24
; %bb.3:
	ds_load_b32 v0, v0
	v_mov_b32_e32 v5, v166
                                        ; implicit-def: $vgpr6
	s_waitcnt vmcnt(0) lgkmcnt(0)
	v_mul_lo_u32 v4, v0, v3
	s_branch .LBB3_5
	.p2align	6
.LBB3_4:                                ;   in Loop: Header=BB3_5 Depth=1
	s_or_b32 exec_lo, exec_lo, s2
	v_add_nc_u32_e32 v5, v5, v3
	v_add_nc_u32_e32 v6, v6, v4
	s_delay_alu instid0(VALU_DEP_2) | instskip(SKIP_1) | instid1(SALU_CYCLE_1)
	v_cmp_ge_i32_e32 vcc_lo, v5, v2
	s_or_b32 s1, vcc_lo, s1
	s_and_not1_b32 exec_lo, exec_lo, s1
	s_cbranch_execz .LBB3_9
.LBB3_5:                                ; =>This Inner Loop Header: Depth=1
	ds_load_b32 v0, v6
	s_mov_b32 s2, exec_lo
	s_waitcnt lgkmcnt(0)
	v_and_b32_e32 v0, 0x1000000, v0
	s_delay_alu instid0(VALU_DEP_1)
	v_cmpx_ne_u32_e32 0, v0
	s_cbranch_execz .LBB3_4
; %bb.6:                                ;   in Loop: Header=BB3_5 Depth=1
	ds_load_b64 v[7:8], v6 offset:104
	s_waitcnt lgkmcnt(0)
	flat_load_b32 v0, v[7:8]
	s_waitcnt vmcnt(0) lgkmcnt(0)
	ds_store_b64 v6, v[0:1] offset:104
	s_branch .LBB3_4
.LBB3_7:
	s_trap 2
	s_sendmsg_rtn_b32 s0, sendmsg(MSG_RTN_GET_DOORBELL)
	s_mov_b32 ttmp2, m0
	s_waitcnt lgkmcnt(0)
	s_and_b32 s0, s0, 0x3ff
	s_delay_alu instid0(SALU_CYCLE_1) | instskip(NEXT) | instid1(SALU_CYCLE_1)
	s_bitset1_b32 s0, 10
	s_mov_b32 m0, s0
	s_sendmsg sendmsg(MSG_INTERRUPT)
	s_mov_b32 m0, ttmp2
.LBB3_8:                                ; =>This Inner Loop Header: Depth=1
	s_sethalt 5
	s_branch .LBB3_8
.LBB3_9:
	s_or_b32 exec_lo, exec_lo, s0
	s_waitcnt lgkmcnt(0)
	s_waitcnt_vscnt null, 0x0
	s_barrier
	buffer_gl0_inv
	s_cbranch_execnz .LBB3_22
; %bb.10:
	ds_load_b32 v0, v0
	s_waitcnt lgkmcnt(0)
	v_cmp_gt_i32_e32 vcc_lo, 1, v0
	s_cbranch_vccnz .LBB3_21
; %bb.11:
	s_mov_b32 s38, 0
	s_mov_b64 s[36:37], src_shared_base
.LBB3_12:                               ; =>This Inner Loop Header: Depth=1
	s_cbranch_execnz .LBB3_26
; %bb.13:                               ;   in Loop: Header=BB3_12 Depth=1
	ds_load_b32 v0, v0
	s_cmp_eq_u32 s38, 0
	s_cbranch_scc1 .LBB3_17
; %bb.14:                               ;   in Loop: Header=BB3_12 Depth=1
	s_cbranch_execnz .LBB3_30
; %bb.15:                               ;   in Loop: Header=BB3_12 Depth=1
	s_waitcnt lgkmcnt(0)
	ds_load_b32 v1, v0
	s_waitcnt lgkmcnt(0)
	v_xor_b32_e32 v1, v1, v0
	s_delay_alu instid0(VALU_DEP_1) | instskip(NEXT) | instid1(VALU_DEP_1)
	v_and_b32_e32 v1, 0xff0000, v1
	v_cmp_eq_u32_e32 vcc_lo, 0, v1
	s_cbranch_vccnz .LBB3_17
; %bb.16:                               ;   in Loop: Header=BB3_12 Depth=1
	s_waitcnt_vscnt null, 0x0
	s_barrier
	buffer_gl0_inv
	ds_load_b32 v0, v0
.LBB3_17:                               ;   in Loop: Header=BB3_12 Depth=1
	s_waitcnt lgkmcnt(0)
	v_lshrrev_b32_e32 v0, 11, v0
	s_mov_b32 s39, exec_lo
	s_delay_alu instid0(VALU_DEP_1) | instskip(NEXT) | instid1(VALU_DEP_1)
	v_and_b32_e32 v1, 0x1fe0, v0
	v_cmpx_lt_u32_e64 v166, v1
	s_cbranch_execz .LBB3_19
; %bb.18:                               ;   in Loop: Header=BB3_12 Depth=1
	v_dual_mov_b32 v0, v166 :: v_dual_mov_b32 v3, s37
	s_getpc_b64 s[0:1]
	s_add_u32 s0, s0, _ZN12_GLOBAL__N_17runRingIf10FuncMinMaxIfE7ProtoLLLi0ELi2ELi0EEEviiP15ncclDevWorkColl@rel32@lo+4
	s_addc_u32 s1, s1, _ZN12_GLOBAL__N_17runRingIf10FuncMinMaxIfE7ProtoLLLi0ELi2ELi0EEEviiP15ncclDevWorkColl@rel32@hi+12
	s_mov_b64 s[34:35], s[8:9]
	s_mov_b32 s36, s12
	s_swappc_b64 s[30:31], s[0:1]
	s_mov_b32 s12, s36
	s_mov_b64 s[8:9], s[34:35]
.LBB3_19:                               ;   in Loop: Header=BB3_12 Depth=1
	s_or_b32 exec_lo, exec_lo, s39
	s_cbranch_execnz .LBB3_28
; %bb.20:                               ;   in Loop: Header=BB3_12 Depth=1
	ds_load_b32 v0, v0
	s_add_i32 s38, s38, 1
	s_waitcnt lgkmcnt(0)
	v_cmp_lt_i32_e32 vcc_lo, s38, v0
	s_cbranch_vccnz .LBB3_12
.LBB3_21:
	v_readlane_b32 s30, v40, 6
	v_readlane_b32 s31, v40, 7
	v_readlane_b32 s39, v40, 5
	v_readlane_b32 s38, v40, 4
	v_readlane_b32 s37, v40, 3
	v_readlane_b32 s36, v40, 2
	v_readlane_b32 s35, v40, 1
	v_readlane_b32 s34, v40, 0
	v_readlane_b32 s0, v40, 8
	s_or_saveexec_b32 s1, -1
	scratch_load_b32 v40, off, s33          ; 4-byte Folded Reload
	s_mov_b32 exec_lo, s1
	s_add_i32 s32, s32, -16
	s_mov_b32 s33, s0
	s_waitcnt vmcnt(0)
	s_setpc_b64 s[30:31]
.LBB3_22:
	s_trap 2
	s_sendmsg_rtn_b32 s0, sendmsg(MSG_RTN_GET_DOORBELL)
	s_mov_b32 ttmp2, m0
	s_waitcnt lgkmcnt(0)
	s_and_b32 s0, s0, 0x3ff
	s_delay_alu instid0(SALU_CYCLE_1) | instskip(NEXT) | instid1(SALU_CYCLE_1)
	s_bitset1_b32 s0, 10
	s_mov_b32 m0, s0
	s_sendmsg sendmsg(MSG_INTERRUPT)
	s_mov_b32 m0, ttmp2
.LBB3_23:                               ; =>This Inner Loop Header: Depth=1
	s_sethalt 5
	s_branch .LBB3_23
.LBB3_24:
	s_trap 2
	s_sendmsg_rtn_b32 s0, sendmsg(MSG_RTN_GET_DOORBELL)
	s_mov_b32 ttmp2, m0
	s_waitcnt lgkmcnt(0)
	s_and_b32 s0, s0, 0x3ff
	s_delay_alu instid0(SALU_CYCLE_1) | instskip(NEXT) | instid1(SALU_CYCLE_1)
	s_bitset1_b32 s0, 10
	s_mov_b32 m0, s0
	s_sendmsg sendmsg(MSG_INTERRUPT)
	s_mov_b32 m0, ttmp2
.LBB3_25:                               ; =>This Inner Loop Header: Depth=1
	s_sethalt 5
	s_branch .LBB3_25
.LBB3_26:
	s_trap 2
	s_sendmsg_rtn_b32 s0, sendmsg(MSG_RTN_GET_DOORBELL)
	s_mov_b32 ttmp2, m0
	s_waitcnt lgkmcnt(0)
	s_and_b32 s0, s0, 0x3ff
	s_delay_alu instid0(SALU_CYCLE_1) | instskip(NEXT) | instid1(SALU_CYCLE_1)
	s_bitset1_b32 s0, 10
	s_mov_b32 m0, s0
	s_sendmsg sendmsg(MSG_INTERRUPT)
	s_mov_b32 m0, ttmp2
.LBB3_27:                               ; =>This Inner Loop Header: Depth=1
	s_sethalt 5
	s_branch .LBB3_27
.LBB3_28:
	s_trap 2
	s_sendmsg_rtn_b32 s0, sendmsg(MSG_RTN_GET_DOORBELL)
	s_mov_b32 ttmp2, m0
	s_waitcnt lgkmcnt(0)
	s_and_b32 s0, s0, 0x3ff
	s_delay_alu instid0(SALU_CYCLE_1) | instskip(NEXT) | instid1(SALU_CYCLE_1)
	s_bitset1_b32 s0, 10
	s_mov_b32 m0, s0
	s_sendmsg sendmsg(MSG_INTERRUPT)
	s_mov_b32 m0, ttmp2
.LBB3_29:                               ; =>This Inner Loop Header: Depth=1
	s_sethalt 5
	s_branch .LBB3_29
.LBB3_30:
	s_trap 2
	s_sendmsg_rtn_b32 s0, sendmsg(MSG_RTN_GET_DOORBELL)
	s_mov_b32 ttmp2, m0
	s_waitcnt lgkmcnt(0)
	s_and_b32 s0, s0, 0x3ff
	s_delay_alu instid0(SALU_CYCLE_1) | instskip(NEXT) | instid1(SALU_CYCLE_1)
	s_bitset1_b32 s0, 10
	s_mov_b32 m0, s0
	s_sendmsg sendmsg(MSG_INTERRUPT)
	s_mov_b32 m0, ttmp2
.LBB3_31:                               ; =>This Inner Loop Header: Depth=1
	s_sethalt 5
	s_branch .LBB3_31
.Lfunc_end3:
	.size	_Z50ncclDevFunc_ReduceScatter_RING_LL_MinMax_f32_0_0_2v, .Lfunc_end3-_Z50ncclDevFunc_ReduceScatter_RING_LL_MinMax_f32_0_0_2v
                                        ; -- End function
	.section	.AMDGPU.csdata,"",@progbits
; Function info:
; codeLenInByte = 1008
; NumSgprs: 42
; NumVgprs: 167
; ScratchSize: 16
; MemoryBound: 0
	.text
	.p2align	2                               ; -- Begin function _ZN12_GLOBAL__N_17runRingIf10FuncMinMaxIfE7ProtoLLLi0ELi4ELi0EEEviiP15ncclDevWorkColl
	.type	_ZN12_GLOBAL__N_17runRingIf10FuncMinMaxIfE7ProtoLLLi0ELi4ELi0EEEviiP15ncclDevWorkColl,@function
_ZN12_GLOBAL__N_17runRingIf10FuncMinMaxIfE7ProtoLLLi0ELi4ELi0EEEviiP15ncclDevWorkColl: ; @_ZN12_GLOBAL__N_17runRingIf10FuncMinMaxIfE7ProtoLLLi0ELi4ELi0EEEviiP15ncclDevWorkColl
; %bb.0:
	s_waitcnt vmcnt(0) expcnt(0) lgkmcnt(0)
	s_cbranch_execnz .LBB4_15
; %bb.1:
	v_mov_b32_e32 v4, v0
	s_clause 0x2
	flat_load_b32 v0, v[2:3]
	flat_load_b128 v[5:8], v[2:3] offset:72
	flat_load_b64 v[19:20], v[2:3] offset:88
	s_mov_b32 s0, exec_lo
                                        ; implicit-def: $vgpr17_vgpr18
                                        ; implicit-def: $vgpr25_vgpr26
	s_waitcnt vmcnt(2) lgkmcnt(2)
	v_and_b32_e32 v11, 0xff, v0
	v_bfe_u32 v10, v0, 8, 8
	s_delay_alu instid0(VALU_DEP_2) | instskip(SKIP_3) | instid1(VALU_DEP_1)
	v_not_b32_e32 v0, v11
	ds_load_b32 v9, v0
	ds_load_b64 v[23:24], v0
	v_add_nc_u32_e32 v12, v10, v0
	v_ashrrev_i32_e32 v13, 31, v12
	s_waitcnt vmcnt(1) lgkmcnt(3)
	v_mul_lo_u32 v14, v8, v12
	v_mad_u64_u32 v[64:65], null, v7, v12, 0
	s_delay_alu instid0(VALU_DEP_3) | instskip(NEXT) | instid1(VALU_DEP_1)
	v_mul_lo_u32 v12, v7, v13
	v_add3_u32 v65, v65, v12, v14
	s_waitcnt lgkmcnt(1)
	v_readfirstlane_b32 s14, v9
	v_cmpx_ne_u32_e64 v11, v9
	s_xor_b32 s0, exec_lo, s0
	s_cbranch_execz .LBB4_7
; %bb.2:
	s_mov_b32 s1, exec_lo
                                        ; implicit-def: $vgpr17_vgpr18
                                        ; implicit-def: $vgpr25_vgpr26
	v_cmpx_ne_u32_e64 v10, v9
	s_xor_b32 s1, exec_lo, s1
	s_cbranch_execz .LBB4_4
; %bb.3:
	flat_load_b64 v[10:11], v[2:3] offset:96
	v_add_nc_u32_e32 v0, v9, v0
	s_delay_alu instid0(VALU_DEP_1) | instskip(SKIP_2) | instid1(VALU_DEP_3)
	v_ashrrev_i32_e32 v9, 31, v0
	v_mul_lo_u32 v12, v8, v0
	v_mad_u64_u32 v[25:26], null, v7, v0, v[5:6]
	v_mul_lo_u32 v9, v7, v9
	s_delay_alu instid0(VALU_DEP_1)
	v_add3_u32 v26, v12, v26, v9
	s_waitcnt vmcnt(0) lgkmcnt(0)
	v_lshrrev_b64 v[17:18], 19, v[10:11]
.LBB4_4:
	s_and_not1_saveexec_b32 s1, s1
	s_cbranch_execz .LBB4_6
; %bb.5:
	flat_load_b32 v0, v[2:3] offset:100
	v_add_co_u32 v25, vcc_lo, v64, v5
	v_add_co_ci_u32_e32 v26, vcc_lo, v65, v6, vcc_lo
	s_waitcnt vmcnt(1)
	v_dual_mov_b32 v7, v19 :: v_dual_mov_b32 v8, v20
	s_waitcnt vmcnt(0) lgkmcnt(0)
	v_lshrrev_b32_e32 v17, 8, v0
.LBB4_6:
	s_or_b32 exec_lo, exec_lo, s1
.LBB4_7:
	s_and_not1_saveexec_b32 s0, s0
	s_cbranch_execz .LBB4_9
; %bb.8:
	flat_load_b64 v[7:8], v[2:3] offset:96
	v_mov_b32_e32 v25, 0
	v_mov_b32_e32 v26, 0
	s_waitcnt vmcnt(0) lgkmcnt(0)
	v_lshlrev_b64 v[17:18], 2, v[7:8]
	v_dual_mov_b32 v8, v6 :: v_dual_mov_b32 v7, v5
.LBB4_9:
	s_or_b32 exec_lo, exec_lo, s0
	s_load_b32 s0, s[8:9], 0x0
	v_mov_b32_e32 v0, 0
	flat_load_b64 v[82:83], v[2:3] offset:104
	s_mov_b32 s2, 0
	s_waitcnt lgkmcnt(0)
	s_cmp_lt_u32 s12, s0
	s_cselect_b32 s0, 12, 18
	s_delay_alu instid0(SALU_CYCLE_1)
	s_add_u32 s0, s8, s0
	s_addc_u32 s1, s9, 0
	s_clause 0x2
	flat_load_b128 v[9:12], v[2:3] offset:16
	flat_load_u16 v14, v[2:3] offset:8
	flat_load_b32 v13, v[2:3] offset:4
	global_load_u16 v0, v0, s[0:1]
	s_cbranch_execnz .LBB4_17
; %bb.10:
	s_waitcnt vmcnt(0)
	ds_load_b32 v2, v0
	s_waitcnt lgkmcnt(1)
	v_lshrrev_b64 v[13:14], 31, v[13:14]
	s_delay_alu instid0(VALU_DEP_1)
	v_and_b32_e32 v14, 3, v13
	v_and_b32_e32 v13, 31, v4
	s_waitcnt lgkmcnt(0)
	v_cmp_gt_i32_e32 vcc_lo, 0, v2
	v_readfirstlane_b32 s1, v2
	s_cbranch_vccnz .LBB4_19
; %bb.11:
	v_cmp_eq_u32_e32 vcc_lo, 0, v13
	s_cbranch_execnz .LBB4_23
; %bb.12:
	ds_load_b64 v[15:16], v0
	v_dual_mov_b32 v3, 0 :: v_dual_and_b32 v18, 0xffff, v14
	s_mov_b32 s2, 1
	s_delay_alu instid0(VALU_DEP_1) | instskip(SKIP_1) | instid1(VALU_DEP_1)
	v_lshlrev_b64 v[2:3], 3, v[2:3]
	s_waitcnt lgkmcnt(0)
	v_add_co_u32 v2, s0, v15, v2
	s_delay_alu instid0(VALU_DEP_1)
	v_add_co_ci_u32_e64 v3, s0, v16, v3, s0
	flat_load_b64 v[2:3], v[2:3]
	s_waitcnt vmcnt(0) lgkmcnt(0)
	v_mad_u64_u32 v[15:16], null, 0xa8, v18, v[2:3]
	s_clause 0x1
	flat_load_b64 v[29:30], v[15:16] offset:504
	flat_load_b64 v[32:33], v[15:16] offset:608
	v_add_co_u32 v2, s0, 0x1f8, v15
	s_delay_alu instid0(VALU_DEP_1) | instskip(NEXT) | instid1(VALU_DEP_1)
	v_add_co_ci_u32_e64 v3, s0, 0, v16, s0
	v_dual_cndmask_b32 v27, 0, v2 :: v_dual_cndmask_b32 v28, 0, v3
	s_cbranch_execz .LBB4_20
.LBB4_13:
	s_trap 2
	s_sendmsg_rtn_b32 s0, sendmsg(MSG_RTN_GET_DOORBELL)
	s_mov_b32 ttmp2, m0
	s_waitcnt lgkmcnt(0)
	s_and_b32 s0, s0, 0x3ff
	s_delay_alu instid0(SALU_CYCLE_1) | instskip(NEXT) | instid1(SALU_CYCLE_1)
	s_bitset1_b32 s0, 10
	s_mov_b32 m0, s0
	s_sendmsg sendmsg(MSG_INTERRUPT)
	s_mov_b32 m0, ttmp2
.LBB4_14:                               ; =>This Inner Loop Header: Depth=1
	s_sethalt 5
	s_branch .LBB4_14
.LBB4_15:
	s_trap 2
	s_sendmsg_rtn_b32 s0, sendmsg(MSG_RTN_GET_DOORBELL)
	s_mov_b32 ttmp2, m0
	s_waitcnt lgkmcnt(0)
	s_and_b32 s0, s0, 0x3ff
	s_delay_alu instid0(SALU_CYCLE_1) | instskip(NEXT) | instid1(SALU_CYCLE_1)
	s_bitset1_b32 s0, 10
	s_mov_b32 m0, s0
	s_sendmsg sendmsg(MSG_INTERRUPT)
	s_mov_b32 m0, ttmp2
.LBB4_16:                               ; =>This Inner Loop Header: Depth=1
	s_sethalt 5
	s_branch .LBB4_16
.LBB4_17:
	s_trap 2
	s_sendmsg_rtn_b32 s0, sendmsg(MSG_RTN_GET_DOORBELL)
	s_mov_b32 ttmp2, m0
	s_waitcnt lgkmcnt(0)
	s_and_b32 s0, s0, 0x3ff
	s_delay_alu instid0(SALU_CYCLE_1) | instskip(NEXT) | instid1(SALU_CYCLE_1)
	s_bitset1_b32 s0, 10
	s_mov_b32 m0, s0
	s_sendmsg sendmsg(MSG_INTERRUPT)
	s_mov_b32 m0, ttmp2
.LBB4_18:                               ; =>This Inner Loop Header: Depth=1
	s_sethalt 5
	s_branch .LBB4_18
.LBB4_19:
	v_mov_b32_e32 v27, 0
	v_mov_b32_e32 v28, 0
                                        ; implicit-def: $vgpr32_vgpr33
                                        ; implicit-def: $vgpr29_vgpr30
	s_cbranch_execnz .LBB4_13
.LBB4_20:
	ds_load_b32 v2, v0
	v_mov_b32_e32 v36, 0
	v_mov_b32_e32 v37, 0
	s_waitcnt lgkmcnt(0)
	v_cmp_gt_i32_e32 vcc_lo, 0, v2
	s_cbranch_vccnz .LBB4_25
; %bb.21:
	s_cbranch_execnz .LBB4_235
; %bb.22:
	ds_load_b64 v[15:16], v0
	v_mov_b32_e32 v3, 0
	s_delay_alu instid0(VALU_DEP_1) | instskip(SKIP_1) | instid1(VALU_DEP_1)
	v_lshlrev_b64 v[2:3], 3, v[2:3]
	s_waitcnt lgkmcnt(0)
	v_add_co_u32 v2, vcc_lo, v15, v2
	s_delay_alu instid0(VALU_DEP_2)
	v_add_co_ci_u32_e32 v3, vcc_lo, v16, v3, vcc_lo
	v_and_b32_e32 v16, 0xffff, v14
	v_cmp_eq_u32_e32 vcc_lo, 0, v13
	flat_load_b64 v[2:3], v[2:3]
	s_waitcnt vmcnt(0) lgkmcnt(0)
	v_mad_u64_u32 v[14:15], null, 0xa8, v16, v[2:3]
	s_clause 0x1
	flat_load_b64 v[38:39], v[14:15]
	flat_load_b64 v[21:22], v[14:15] offset:104
	v_dual_cndmask_b32 v35, 0, v15 :: v_dual_cndmask_b32 v34, 0, v14
	s_branch .LBB4_26
.LBB4_23:
	s_trap 2
	s_sendmsg_rtn_b32 s0, sendmsg(MSG_RTN_GET_DOORBELL)
	s_mov_b32 ttmp2, m0
	s_waitcnt lgkmcnt(0)
	s_and_b32 s0, s0, 0x3ff
	s_delay_alu instid0(SALU_CYCLE_1) | instskip(NEXT) | instid1(SALU_CYCLE_1)
	s_bitset1_b32 s0, 10
	s_mov_b32 m0, s0
	s_sendmsg sendmsg(MSG_INTERRUPT)
	s_mov_b32 m0, ttmp2
.LBB4_24:                               ; =>This Inner Loop Header: Depth=1
	s_sethalt 5
	s_branch .LBB4_24
.LBB4_25:
	s_delay_alu instid0(VALU_DEP_2)
	v_dual_mov_b32 v34, v36 :: v_dual_mov_b32 v35, v37
                                        ; implicit-def: $vgpr21_vgpr22
                                        ; implicit-def: $vgpr38_vgpr39
.LBB4_26:
	v_subrev_nc_u32_e32 v2, 32, v1
	v_cmp_gt_u32_e64 s0, s2, v13
                                        ; implicit-def: $vgpr48_vgpr49
	s_delay_alu instid0(VALU_DEP_2) | instskip(NEXT) | instid1(VALU_DEP_2)
	v_cmp_le_i32_e32 vcc_lo, v2, v4
	s_and_b32 s13, vcc_lo, s0
	s_delay_alu instid0(SALU_CYCLE_1)
	s_and_saveexec_b32 s0, s13
; %bb.27:
	s_clause 0x1
	flat_load_b64 v[36:37], v[27:28] offset:56
	flat_load_b64 v[48:49], v[27:28] offset:104
; %bb.28:
	s_or_b32 exec_lo, exec_lo, s0
	v_mov_b32_e32 v2, 0
	v_mov_b32_e32 v3, 0
	v_cmp_gt_i32_e64 s0, s2, v4
                                        ; implicit-def: $vgpr52_vgpr53
	s_delay_alu instid0(VALU_DEP_2) | instskip(SKIP_1) | instid1(VALU_DEP_3)
	v_dual_mov_b32 v14, v3 :: v_dual_mov_b32 v13, v2
	v_dual_mov_b32 v51, v3 :: v_dual_mov_b32 v50, v2
	s_and_saveexec_b32 s2, s0
	s_cbranch_execz .LBB4_30
; %bb.29:
	flat_load_b64 v[50:51], v[34:35] offset:56
	s_waitcnt vmcnt(0) lgkmcnt(0)
	flat_load_b64 v[52:53], v[50:51] glc dlc
	s_waitcnt vmcnt(0)
	flat_load_b128 v[13:16], v[34:35] offset:96
.LBB4_30:
	s_or_b32 exec_lo, exec_lo, s2
	v_and_b32_e32 v0, 0xffff, v0
	s_mov_b32 s16, exec_lo
	v_cmpx_ne_u64_e32 0, v[7:8]
	s_cbranch_execz .LBB4_223
; %bb.31:
	v_add_co_u32 v2, vcc_lo, v19, v5
	s_ashr_i32 s2, s1, 31
	v_add_co_ci_u32_e32 v3, vcc_lo, v20, v6, vcc_lo
	s_delay_alu instid0(VALU_DEP_2)
	v_add_co_u32 v64, vcc_lo, v2, v64
	v_ashrrev_i32_e32 v2, 31, v1
	s_lshr_b32 s2, s2, 29
	s_ashr_i32 s15, s14, 31
	s_add_i32 s1, s1, s2
	s_lshl_b64 s[2:3], s[14:15], 2
	v_add_co_ci_u32_e32 v65, vcc_lo, v3, v65, vcc_lo
	v_add_co_u32 v3, vcc_lo, v23, s2
	v_lshrrev_b32_e32 v6, 27, v2
	v_add_co_ci_u32_e32 v5, vcc_lo, s3, v24, vcc_lo
	v_mov_b32_e32 v118, 0
	s_delay_alu instid0(VALU_DEP_4) | instskip(NEXT) | instid1(VALU_DEP_4)
	v_add_co_u32 v66, vcc_lo, v3, -4
	v_add_nc_u32_e32 v3, v1, v6
	s_delay_alu instid0(VALU_DEP_3) | instskip(SKIP_2) | instid1(VALU_DEP_3)
	v_dual_mov_b32 v83, v118 :: v_dual_lshlrev_b32 v68, 1, v4
	v_dual_mov_b32 v19, v118 :: v_dual_lshlrev_b32 v70, 1, v1
	v_add_co_ci_u32_e32 v67, vcc_lo, -1, v5, vcc_lo
	v_ashrrev_i32_e32 v69, 31, v68
	v_and_b32_e32 v5, 31, v31
	s_delay_alu instid0(VALU_DEP_4)
	v_ashrrev_i32_e32 v71, 31, v70
	v_and_b32_e32 v18, 1, v82
	v_and_b32_e32 v82, 3, v9
	v_lshlrev_b64 v[80:81], 2, v[68:69]
	v_ashrrev_i32_e32 v119, 5, v3
	v_lshlrev_b64 v[86:87], 2, v[70:71]
	v_mov_b32_e32 v71, 1
	v_cmp_eq_u64_e64 s8, 0, v[82:83]
	v_mov_b32_e32 v82, 0
	v_cmp_eq_u32_e64 s5, 0, v5
	v_ashrrev_i32_e32 v5, 31, v4
	v_add_co_u32 v128, vcc_lo, v11, v80
	v_add_co_ci_u32_e32 v129, vcc_lo, v12, v81, vcc_lo
	s_delay_alu instid0(VALU_DEP_3) | instskip(SKIP_4) | instid1(VALU_DEP_4)
	v_lshlrev_b64 v[5:6], 4, v[4:5]
	v_add_co_u32 v130, vcc_lo, v9, v80
	v_add_co_ci_u32_e32 v131, vcc_lo, v10, v81, vcc_lo
	v_lshlrev_b64 v[9:10], 2, v[25:26]
	s_waitcnt vmcnt(1) lgkmcnt(1)
	v_add_co_u32 v132, vcc_lo, v38, v5
	v_add_co_ci_u32_e32 v133, vcc_lo, v39, v6, vcc_lo
	v_lshlrev_b64 v[5:6], 4, v[1:2]
	s_delay_alu instid0(VALU_DEP_4)
	v_add_co_u32 v2, vcc_lo, v9, v80
	v_add_co_ci_u32_e32 v3, vcc_lo, v10, v81, vcc_lo
	v_dual_mov_b32 v55, v118 :: v_dual_and_b32 v54, 0x7ffffc, v17
	v_mov_b32_e32 v83, 0
	v_lshlrev_b32_e32 v17, 2, v17
	v_add_co_u32 v9, vcc_lo, v11, v2
	s_ashr_i32 s4, s1, 3
	s_ashr_i32 s17, s1, 7
	v_cmp_ne_u64_e64 s1, 0, v[50:51]
	s_waitcnt vmcnt(0) lgkmcnt(0)
	v_cmp_ne_u64_e64 s2, 0, v[13:14]
	v_cmp_ne_u64_e64 s7, 0, v[36:37]
	v_cmp_eq_u64_e64 s9, 0, v[18:19]
	v_add_co_ci_u32_e32 v10, vcc_lo, v12, v3, vcc_lo
	v_mov_b32_e32 v2, v82
	v_lshlrev_b64 v[84:85], 2, v[64:65]
	s_and_b32 s15, s4, -16
	v_cmp_ne_u32_e64 s3, 32, v1
	v_cmp_ne_u32_e64 s4, v0, v1
	v_ashrrev_i32_e32 v69, 31, v119
	v_cmp_eq_u32_e64 s6, 1, v18
	v_dual_mov_b32 v135, 0 :: v_dual_and_b32 v134, 0x1fffff0, v17
	v_mov_b32_e32 v3, v83
	s_cmp_gt_i32 s14, 2
	s_mov_b32 s18, 0
	s_cselect_b32 s19, -1, 0
.LBB4_32:                               ; =>This Loop Header: Depth=1
                                        ;     Child Loop BB4_39 Depth 2
                                        ;     Child Loop BB4_59 Depth 2
	;; [unrolled: 1-line block ×5, first 2 shown]
                                        ;       Child Loop BB4_90 Depth 3
                                        ;       Child Loop BB4_110 Depth 3
	;; [unrolled: 1-line block ×3, first 2 shown]
                                        ;         Child Loop BB4_134 Depth 4
                                        ;       Child Loop BB4_152 Depth 3
                                        ;       Child Loop BB4_169 Depth 3
                                        ;     Child Loop BB4_174 Depth 2
                                        ;       Child Loop BB4_180 Depth 3
                                        ;     Child Loop BB4_206 Depth 2
	s_waitcnt vmcnt(0) lgkmcnt(0)
	flat_load_b32 v19, v[66:67]
	v_sub_co_u32 v17, vcc_lo, v7, v82
	v_sub_co_ci_u32_e32 v18, vcc_lo, v8, v83, vcc_lo
	s_delay_alu instid0(VALU_DEP_1) | instskip(SKIP_1) | instid1(VALU_DEP_1)
	v_cmp_lt_u64_e32 vcc_lo, v[54:55], v[17:18]
	v_cndmask_b32_e32 v20, v17, v54, vcc_lo
	v_lshl_add_u32 v17, v20, 3, 8
	s_delay_alu instid0(VALU_DEP_1)
	v_and_b32_e32 v145, 0x7fffff0, v17
	s_and_saveexec_b32 s10, s1
	s_cbranch_execz .LBB4_50
; %bb.33:                               ;   in Loop: Header=BB4_32 Depth=1
	v_add_co_u32 v17, vcc_lo, v15, 1
	v_add_co_ci_u32_e32 v18, vcc_lo, 0, v16, vcc_lo
	v_add_co_u32 v96, vcc_lo, v52, 8
	v_add_co_ci_u32_e32 v97, vcc_lo, 0, v53, vcc_lo
	s_mov_b32 s11, exec_lo
	s_delay_alu instid0(VALU_DEP_1)
	v_cmpx_lt_u64_e64 v[96:97], v[17:18]
	s_cbranch_execz .LBB4_47
; %bb.34:                               ;   in Loop: Header=BB4_32 Depth=1
	s_sleep 1
	flat_load_b64 v[52:53], v[50:51] glc
	v_cmp_eq_u32_e32 vcc_lo, 0, v135
	s_and_saveexec_b32 s12, vcc_lo
	s_cbranch_execz .LBB4_46
; %bb.35:                               ;   in Loop: Header=BB4_32 Depth=1
	v_cndmask_b32_e64 v16, 0, 1, vcc_lo
	s_mov_b32 s20, 0
                                        ; implicit-def: $sgpr21
	s_branch .LBB4_39
.LBB4_36:                               ;   in Loop: Header=BB4_39 Depth=2
	s_or_b32 exec_lo, exec_lo, s24
	s_delay_alu instid0(SALU_CYCLE_1)
	s_or_not1_b32 s24, s25, exec_lo
.LBB4_37:                               ;   in Loop: Header=BB4_39 Depth=2
	s_or_b32 exec_lo, exec_lo, s23
	s_xor_b32 s23, s24, -1
	s_and_not1_b32 s21, s21, exec_lo
	s_and_b32 s23, s23, exec_lo
	s_delay_alu instid0(SALU_CYCLE_1)
	s_or_b32 s21, s21, s23
.LBB4_38:                               ;   in Loop: Header=BB4_39 Depth=2
	s_or_b32 exec_lo, exec_lo, s22
	s_delay_alu instid0(SALU_CYCLE_1) | instskip(NEXT) | instid1(SALU_CYCLE_1)
	s_and_b32 s22, exec_lo, s21
	s_or_b32 s20, s22, s20
	s_delay_alu instid0(SALU_CYCLE_1)
	s_and_not1_b32 exec_lo, exec_lo, s20
	s_cbranch_execz .LBB4_45
.LBB4_39:                               ;   Parent Loop BB4_32 Depth=1
                                        ; =>  This Inner Loop Header: Depth=2
	s_waitcnt vmcnt(0) lgkmcnt(0)
	v_add_co_u32 v96, vcc_lo, v52, 8
	v_add_co_ci_u32_e32 v97, vcc_lo, 0, v53, vcc_lo
	v_mov_b32_e32 v135, 0
	s_or_b32 s21, s21, exec_lo
	s_mov_b32 s22, exec_lo
	s_delay_alu instid0(VALU_DEP_2)
	v_cmpx_lt_u64_e64 v[96:97], v[17:18]
	s_cbranch_execz .LBB4_38
; %bb.40:                               ;   in Loop: Header=BB4_39 Depth=2
	s_sleep 1
	flat_load_b64 v[52:53], v[50:51] glc
	v_dual_mov_b32 v135, 0 :: v_dual_add_nc_u32 v16, 1, v16
	s_mov_b32 s24, -1
	s_mov_b32 s23, exec_lo
	s_delay_alu instid0(VALU_DEP_1)
	v_cmpx_eq_u32_e32 0x2710, v16
	s_cbranch_execz .LBB4_37
; %bb.41:                               ;   in Loop: Header=BB4_39 Depth=2
	s_cbranch_execnz .LBB4_241
; %bb.42:                               ;   in Loop: Header=BB4_39 Depth=2
	ds_load_b64 v[96:97], v0
	v_dual_mov_b32 v16, 0 :: v_dual_mov_b32 v135, 0
	s_mov_b32 s25, -1
	s_mov_b32 s24, exec_lo
	s_waitcnt vmcnt(0) lgkmcnt(0)
	s_waitcnt_vscnt null, 0x0
	flat_load_b32 v96, v[96:97] glc
	s_waitcnt vmcnt(0) lgkmcnt(0)
	buffer_gl1_inv
	buffer_gl0_inv
	v_cmpx_ne_u32_e32 0, v96
	s_cbranch_execz .LBB4_36
; %bb.43:                               ;   in Loop: Header=BB4_39 Depth=2
	ds_store_b32 v0, v96
	s_cbranch_execnz .LBB4_266
; %bb.44:                               ;   in Loop: Header=BB4_39 Depth=2
	v_mov_b32_e32 v135, 1
	s_xor_b32 s25, exec_lo, -1
	s_branch .LBB4_36
.LBB4_45:                               ;   in Loop: Header=BB4_32 Depth=1
	s_or_b32 exec_lo, exec_lo, s20
.LBB4_46:                               ;   in Loop: Header=BB4_32 Depth=1
	s_delay_alu instid0(SALU_CYCLE_1)
	s_or_b32 exec_lo, exec_lo, s12
.LBB4_47:                               ;   in Loop: Header=BB4_32 Depth=1
	s_delay_alu instid0(SALU_CYCLE_1)
	s_or_b32 exec_lo, exec_lo, s11
	s_and_saveexec_b32 s11, s2
	s_cbranch_execz .LBB4_49
; %bb.48:                               ;   in Loop: Header=BB4_32 Depth=1
	v_dual_mov_b32 v97, v118 :: v_dual_and_b32 v96, 0x7ffffff8, v15
	v_and_b32_e32 v16, 7, v15
	s_delay_alu instid0(VALU_DEP_2) | instskip(NEXT) | instid1(VALU_DEP_2)
	v_cmp_eq_u64_e32 vcc_lo, 0x7ffffff8, v[96:97]
	v_mad_u64_u32 v[96:97], null, v16, 24, v[13:14]
	v_cndmask_b32_e64 v15, v145, s15, vcc_lo
	s_delay_alu instid0(VALU_DEP_1)
	v_ashrrev_i32_e32 v16, 31, v15
	flat_store_b64 v[96:97], v[15:16] offset:8 dlc
	s_waitcnt_vscnt null, 0x0
.LBB4_49:                               ;   in Loop: Header=BB4_32 Depth=1
	s_or_b32 exec_lo, exec_lo, s11
	v_dual_mov_b32 v15, v17 :: v_dual_mov_b32 v16, v18
.LBB4_50:                               ;   in Loop: Header=BB4_32 Depth=1
	s_or_b32 exec_lo, exec_lo, s10
	s_and_saveexec_b32 s10, s3
	s_cbranch_execz .LBB4_72
; %bb.51:                               ;   in Loop: Header=BB4_32 Depth=1
	s_and_saveexec_b32 s11, s4
	s_delay_alu instid0(SALU_CYCLE_1)
	s_xor_b32 s11, exec_lo, s11
	s_cbranch_execz .LBB4_69
; %bb.52:                               ;   in Loop: Header=BB4_32 Depth=1
	s_and_saveexec_b32 s12, s5
	s_cbranch_execz .LBB4_68
; %bb.53:                               ;   in Loop: Header=BB4_32 Depth=1
	s_mov_b32 s21, exec_lo
	s_mov_b32 s20, exec_lo
	v_mbcnt_lo_u32_b32 v17, s21, 0
	s_waitcnt vmcnt(0) lgkmcnt(0)
	s_waitcnt_vscnt null, 0x0
	buffer_gl1_inv
	buffer_gl0_inv
	v_cmpx_eq_u32_e32 0, v17
	s_cbranch_execz .LBB4_55
; %bb.54:                               ;   in Loop: Header=BB4_32 Depth=1
	s_bcnt1_i32_b32 s21, s21
	s_delay_alu instid0(SALU_CYCLE_1)
	v_dual_mov_b32 v18, v118 :: v_dual_mov_b32 v17, s21
	ds_add_u64 v0, v[17:18]
	s_cbranch_execnz .LBB4_260
.LBB4_55:                               ;   in Loop: Header=BB4_32 Depth=1
	s_or_b32 exec_lo, exec_lo, s20
	s_cbranch_execnz .LBB4_247
; %bb.56:                               ;   in Loop: Header=BB4_32 Depth=1
	ds_load_b64 v[17:18], v0
	v_add_co_u32 v2, vcc_lo, v2, v119
	v_add_co_ci_u32_e32 v3, vcc_lo, v3, v69, vcc_lo
	s_mov_b32 s20, exec_lo
	s_waitcnt lgkmcnt(0)
	s_delay_alu instid0(VALU_DEP_1)
	v_cmpx_lt_u64_e64 v[17:18], v[2:3]
	s_cbranch_execz .LBB4_67
; %bb.57:                               ;   in Loop: Header=BB4_32 Depth=1
	s_mov_b32 s21, 0
	s_mov_b32 s24, 0
                                        ; implicit-def: $sgpr22
                                        ; implicit-def: $sgpr23
	s_branch .LBB4_59
.LBB4_58:                               ;   in Loop: Header=BB4_59 Depth=2
	s_or_b32 exec_lo, exec_lo, s27
	s_delay_alu instid0(SALU_CYCLE_1) | instskip(NEXT) | instid1(SALU_CYCLE_1)
	s_and_b32 s25, exec_lo, s26
	s_or_b32 s21, s25, s21
	s_and_not1_b32 s22, s22, exec_lo
	s_and_b32 s25, s23, exec_lo
	s_delay_alu instid0(SALU_CYCLE_1)
	s_or_b32 s22, s22, s25
	s_and_not1_b32 exec_lo, exec_lo, s21
	s_cbranch_execz .LBB4_65
.LBB4_59:                               ;   Parent Loop BB4_32 Depth=1
                                        ; =>  This Inner Loop Header: Depth=2
	s_add_i32 s24, s24, 1
                                        ; implicit-def: $sgpr26
	s_delay_alu instid0(SALU_CYCLE_1) | instskip(SKIP_1) | instid1(SALU_CYCLE_1)
	s_cmpk_lg_i32 s24, 0x2710
	s_cselect_b32 s25, -1, 0
	s_and_b32 vcc_lo, exec_lo, s25
	s_cbranch_vccz .LBB4_63
.LBB4_60:                               ;   in Loop: Header=BB4_59 Depth=2
	s_and_not1_b32 s23, s23, exec_lo
	s_and_b32 s27, s26, exec_lo
	s_mov_b32 s26, -1
	s_or_b32 s23, s23, s27
	s_and_saveexec_b32 s27, s25
	s_cbranch_execz .LBB4_58
; %bb.61:                               ;   in Loop: Header=BB4_59 Depth=2
	s_sleep 1
	s_cbranch_execnz .LBB4_274
; %bb.62:                               ;   in Loop: Header=BB4_59 Depth=2
	ds_load_b64 v[17:18], v0
	s_and_not1_b32 s23, s23, exec_lo
	s_waitcnt lgkmcnt(0)
	v_cmp_ge_u64_e32 vcc_lo, v[17:18], v[2:3]
	s_or_not1_b32 s26, vcc_lo, exec_lo
	s_branch .LBB4_58
.LBB4_63:                               ;   in Loop: Header=BB4_59 Depth=2
	s_cbranch_execnz .LBB4_282
; %bb.64:                               ;   in Loop: Header=BB4_59 Depth=2
	ds_load_b64 v[17:18], v0
	s_and_not1_b32 s25, s25, exec_lo
	s_mov_b32 s24, 0
	s_mov_b32 s26, -1
	s_waitcnt lgkmcnt(0)
	flat_load_b32 v17, v[17:18] glc
	s_waitcnt vmcnt(0) lgkmcnt(0)
	buffer_gl1_inv
	buffer_gl0_inv
	v_cmp_eq_u32_e32 vcc_lo, 0, v17
	s_and_b32 s27, vcc_lo, exec_lo
	s_delay_alu instid0(SALU_CYCLE_1)
	s_or_b32 s25, s25, s27
	s_branch .LBB4_60
.LBB4_65:                               ;   in Loop: Header=BB4_32 Depth=1
	s_or_b32 exec_lo, exec_lo, s21
	s_and_saveexec_b32 s21, s22
	s_delay_alu instid0(SALU_CYCLE_1)
	s_xor_b32 s21, exec_lo, s21
	s_cbranch_execz .LBB4_67
; %bb.66:                               ;   in Loop: Header=BB4_32 Depth=1
	ds_store_b32 v0, v71
	s_cbranch_execnz .LBB4_307
.LBB4_67:                               ;   in Loop: Header=BB4_32 Depth=1
	s_or_b32 exec_lo, exec_lo, s20
	;;#ASMSTART
	s_wakeup
	;;#ASMEND
.LBB4_68:                               ;   in Loop: Header=BB4_32 Depth=1
	s_or_b32 exec_lo, exec_lo, s12
.LBB4_69:                               ;   in Loop: Header=BB4_32 Depth=1
	s_and_not1_saveexec_b32 s11, s11
	s_cbranch_execz .LBB4_71
; %bb.70:                               ;   in Loop: Header=BB4_32 Depth=1
	s_waitcnt vmcnt(0) lgkmcnt(0)
	s_waitcnt_vscnt null, 0x0
	buffer_gl1_inv
	buffer_gl0_inv
	s_barrier
.LBB4_71:                               ;   in Loop: Header=BB4_32 Depth=1
	s_or_b32 exec_lo, exec_lo, s11
.LBB4_72:                               ;   in Loop: Header=BB4_32 Depth=1
	s_delay_alu instid0(SALU_CYCLE_1) | instskip(SKIP_2) | instid1(VALU_DEP_2)
	s_or_b32 exec_lo, exec_lo, s10
	v_sub_nc_u32_e32 v144, v20, v68
	v_mov_b32_e32 v96, v4
	v_cmp_lt_i32_e64 s10, 0, v144
	s_delay_alu instid0(VALU_DEP_1)
	s_and_saveexec_b32 s12, s10
	s_cbranch_execz .LBB4_78
; %bb.73:                               ;   in Loop: Header=BB4_32 Depth=1
	v_dual_mov_b32 v100, v21 :: v_dual_and_b32 v17, 7, v21
	s_waitcnt vmcnt(0) lgkmcnt(0)
	v_ashrrev_i32_e32 v20, 31, v19
	v_mad_u64_u32 v[97:98], null, v84, v19, v[9:10]
	s_delay_alu instid0(VALU_DEP_3) | instskip(SKIP_1) | instid1(VALU_DEP_4)
	v_mul_lo_u32 v17, v17, s17
	v_mul_lo_u32 v96, v85, v19
	;; [unrolled: 1-line block ×3, first 2 shown]
	v_add_co_u32 v112, vcc_lo, 0, 0
	v_mov_b32_e32 v103, v144
	s_mov_b32 s20, 0
                                        ; implicit-def: $vgpr101_vgpr102
	v_ashrrev_i32_e32 v18, 31, v17
	s_delay_alu instid0(VALU_DEP_4) | instskip(SKIP_1) | instid1(VALU_DEP_3)
	v_add3_u32 v98, v96, v98, v99
	v_mov_b32_e32 v96, v4
	v_lshlrev_b64 v[19:20], 4, v[17:18]
	v_add_co_ci_u32_e32 v18, vcc_lo, 1, v100, vcc_lo
	s_delay_alu instid0(VALU_DEP_2) | instskip(NEXT) | instid1(VALU_DEP_3)
	v_add_co_u32 v99, vcc_lo, v132, v19
	v_add_co_ci_u32_e32 v100, vcc_lo, v133, v20, vcc_lo
	s_set_inst_prefetch_distance 0x1
	s_branch .LBB4_75
	.p2align	6
.LBB4_74:                               ;   in Loop: Header=BB4_75 Depth=2
	s_or_b32 exec_lo, exec_lo, s11
	s_waitcnt vmcnt(0) lgkmcnt(0)
	v_dual_mov_b32 v19, v102 :: v_dual_add_nc_u32 v96, v96, v1
	v_or_b32_e32 v17, v112, v17
	v_mov_b32_e32 v20, v18
	v_sub_nc_u32_e32 v103, v103, v70
	s_delay_alu instid0(VALU_DEP_4) | instskip(SKIP_1) | instid1(VALU_DEP_1)
	v_or_b32_e32 v19, v19, v112
	v_add_co_u32 v97, s11, v97, v86
	v_add_co_ci_u32_e64 v98, s11, v98, v87, s11
	global_store_b128 v[99:100], v[17:20], off
	v_add_co_u32 v99, vcc_lo, v99, v5
	v_add_co_ci_u32_e32 v100, vcc_lo, v100, v6, vcc_lo
	v_cmp_gt_i32_e32 vcc_lo, 1, v103
	s_or_b32 s20, vcc_lo, s20
	s_delay_alu instid0(SALU_CYCLE_1)
	s_and_not1_b32 exec_lo, exec_lo, s20
	s_cbranch_execz .LBB4_77
.LBB4_75:                               ;   Parent Loop BB4_32 Depth=1
                                        ; =>  This Inner Loop Header: Depth=2
	flat_load_b32 v17, v[97:98] glc
	s_mov_b32 s11, exec_lo
	v_cmpx_ne_u32_e32 1, v103
	s_cbranch_execz .LBB4_74
; %bb.76:                               ;   in Loop: Header=BB4_75 Depth=2
	flat_load_b32 v102, v[97:98] offset:4 glc
	s_branch .LBB4_74
.LBB4_77:                               ;   in Loop: Header=BB4_32 Depth=1
	s_set_inst_prefetch_distance 0x2
	s_or_b32 exec_lo, exec_lo, s20
.LBB4_78:                               ;   in Loop: Header=BB4_32 Depth=1
	s_delay_alu instid0(SALU_CYCLE_1) | instskip(SKIP_2) | instid1(VALU_DEP_2)
	s_or_b32 exec_lo, exec_lo, s12
	v_dual_mov_b32 v18, v118 :: v_dual_and_b32 v17, 0x7ffffff8, v21
	v_cmp_gt_i32_e64 s11, s17, v96
	v_cmp_eq_u64_e32 vcc_lo, 0x7ffffff8, v[17:18]
	s_delay_alu instid0(VALU_DEP_2) | instskip(NEXT) | instid1(SALU_CYCLE_1)
	s_and_b32 s11, vcc_lo, s11
	s_and_saveexec_b32 s12, s11
	s_cbranch_execz .LBB4_81
; %bb.79:                               ;   in Loop: Header=BB4_32 Depth=1
	v_and_b32_e32 v17, 7, v21
	v_ashrrev_i32_e32 v97, 31, v96
	s_mov_b32 s20, 0
	s_delay_alu instid0(VALU_DEP_2) | instskip(SKIP_1) | instid1(VALU_DEP_2)
	v_mul_lo_u32 v17, v17, s17
	s_waitcnt vmcnt(0) lgkmcnt(0)
	v_lshlrev_b64 v[19:20], 4, v[96:97]
	v_mov_b32_e32 v97, v21
	s_delay_alu instid0(VALU_DEP_3) | instskip(NEXT) | instid1(VALU_DEP_1)
	v_ashrrev_i32_e32 v18, 31, v17
	v_lshlrev_b64 v[17:18], 4, v[17:18]
	s_delay_alu instid0(VALU_DEP_1) | instskip(NEXT) | instid1(VALU_DEP_2)
	v_add_co_u32 v19, vcc_lo, v19, v17
	v_add_co_ci_u32_e32 v20, vcc_lo, v20, v18, vcc_lo
	v_add_co_u32 v17, vcc_lo, 0, 0
	v_add_co_ci_u32_e32 v18, vcc_lo, 1, v97, vcc_lo
	s_delay_alu instid0(VALU_DEP_4) | instskip(NEXT) | instid1(VALU_DEP_4)
	v_add_co_u32 v97, vcc_lo, v38, v19
	v_add_co_ci_u32_e32 v98, vcc_lo, v39, v20, vcc_lo
.LBB4_80:                               ;   Parent Loop BB4_32 Depth=1
                                        ; =>  This Inner Loop Header: Depth=2
	s_delay_alu instid0(VALU_DEP_4) | instskip(NEXT) | instid1(VALU_DEP_4)
	v_dual_mov_b32 v19, v17 :: v_dual_add_nc_u32 v96, v96, v1
	v_mov_b32_e32 v20, v18
	s_delay_alu instid0(VALU_DEP_2) | instskip(SKIP_2) | instid1(VALU_DEP_1)
	v_cmp_le_i32_e32 vcc_lo, s17, v96
	global_store_b128 v[97:98], v[17:20], off
	v_add_co_u32 v97, s11, v97, v5
	v_add_co_ci_u32_e64 v98, s11, v98, v6, s11
	s_or_b32 s20, vcc_lo, s20
	s_delay_alu instid0(SALU_CYCLE_1)
	s_and_not1_b32 exec_lo, exec_lo, s20
	s_cbranch_execnz .LBB4_80
.LBB4_81:                               ;   in Loop: Header=BB4_32 Depth=1
	s_or_b32 exec_lo, exec_lo, s12
	v_add_co_u32 v96, vcc_lo, v82, v25
	v_add_co_ci_u32_e32 v97, vcc_lo, v83, v26, vcc_lo
	v_add_co_u32 v98, vcc_lo, v21, 1
	v_add_co_ci_u32_e32 v99, vcc_lo, 0, v22, vcc_lo
	s_and_not1_b32 vcc_lo, exec_lo, s19
	s_cbranch_vccnz .LBB4_171
; %bb.82:                               ;   in Loop: Header=BB4_32 Depth=1
	v_lshlrev_b64 v[17:18], 2, v[96:97]
	v_add_nc_u16 v148, v21, 1
	s_mov_b32 s20, 2
	s_delay_alu instid0(VALU_DEP_2) | instskip(NEXT) | instid1(VALU_DEP_3)
	v_add_co_u32 v146, vcc_lo, v128, v17
	v_add_co_ci_u32_e32 v147, vcc_lo, v129, v18, vcc_lo
.LBB4_83:                               ;   Parent Loop BB4_32 Depth=1
                                        ; =>  This Loop Header: Depth=2
                                        ;       Child Loop BB4_90 Depth 3
                                        ;       Child Loop BB4_110 Depth 3
	;; [unrolled: 1-line block ×3, first 2 shown]
                                        ;         Child Loop BB4_134 Depth 4
                                        ;       Child Loop BB4_152 Depth 3
                                        ;       Child Loop BB4_169 Depth 3
	s_sub_i32 s22, s14, s20
	s_delay_alu instid0(SALU_CYCLE_1) | instskip(NEXT) | instid1(SALU_CYCLE_1)
	s_ashr_i32 s23, s22, 31
	s_lshl_b64 s[22:23], s[22:23], 2
	s_delay_alu instid0(SALU_CYCLE_1)
	v_add_co_u32 v17, vcc_lo, v23, s22
	v_add_co_ci_u32_e32 v18, vcc_lo, s23, v24, vcc_lo
	s_waitcnt vmcnt(0) lgkmcnt(0)
	flat_load_b32 v19, v[17:18]
	s_and_saveexec_b32 s11, s1
	s_cbranch_execz .LBB4_101
; %bb.84:                               ;   in Loop: Header=BB4_83 Depth=2
	v_add_co_u32 v17, vcc_lo, v15, 1
	v_add_co_ci_u32_e32 v18, vcc_lo, 0, v16, vcc_lo
	v_add_co_u32 v20, vcc_lo, v52, 8
	v_add_co_ci_u32_e32 v21, vcc_lo, 0, v53, vcc_lo
	s_mov_b32 s12, exec_lo
	s_delay_alu instid0(VALU_DEP_1)
	v_cmpx_lt_u64_e64 v[20:21], v[17:18]
	s_cbranch_execz .LBB4_98
; %bb.85:                               ;   in Loop: Header=BB4_83 Depth=2
	s_sleep 1
	flat_load_b64 v[52:53], v[50:51] glc
	v_cmp_eq_u32_e32 vcc_lo, 0, v135
	s_and_saveexec_b32 s21, vcc_lo
	s_cbranch_execz .LBB4_97
; %bb.86:                               ;   in Loop: Header=BB4_83 Depth=2
	v_cndmask_b32_e64 v16, 0, 1, vcc_lo
	s_mov_b32 s22, 0
                                        ; implicit-def: $sgpr23
	s_branch .LBB4_90
.LBB4_87:                               ;   in Loop: Header=BB4_90 Depth=3
	s_or_b32 exec_lo, exec_lo, s26
	s_delay_alu instid0(SALU_CYCLE_1)
	s_or_not1_b32 s26, s27, exec_lo
.LBB4_88:                               ;   in Loop: Header=BB4_90 Depth=3
	s_or_b32 exec_lo, exec_lo, s25
	s_xor_b32 s25, s26, -1
	s_and_not1_b32 s23, s23, exec_lo
	s_and_b32 s25, s25, exec_lo
	s_delay_alu instid0(SALU_CYCLE_1)
	s_or_b32 s23, s23, s25
.LBB4_89:                               ;   in Loop: Header=BB4_90 Depth=3
	s_or_b32 exec_lo, exec_lo, s24
	s_delay_alu instid0(SALU_CYCLE_1) | instskip(NEXT) | instid1(SALU_CYCLE_1)
	s_and_b32 s24, exec_lo, s23
	s_or_b32 s22, s24, s22
	s_delay_alu instid0(SALU_CYCLE_1)
	s_and_not1_b32 exec_lo, exec_lo, s22
	s_cbranch_execz .LBB4_96
.LBB4_90:                               ;   Parent Loop BB4_32 Depth=1
                                        ;     Parent Loop BB4_83 Depth=2
                                        ; =>    This Inner Loop Header: Depth=3
	s_waitcnt vmcnt(0) lgkmcnt(0)
	v_add_co_u32 v20, vcc_lo, v52, 8
	v_add_co_ci_u32_e32 v21, vcc_lo, 0, v53, vcc_lo
	v_mov_b32_e32 v135, 0
	s_or_b32 s23, s23, exec_lo
	s_mov_b32 s24, exec_lo
	s_delay_alu instid0(VALU_DEP_2)
	v_cmpx_lt_u64_e64 v[20:21], v[17:18]
	s_cbranch_execz .LBB4_89
; %bb.91:                               ;   in Loop: Header=BB4_90 Depth=3
	s_sleep 1
	flat_load_b64 v[52:53], v[50:51] glc
	v_dual_mov_b32 v135, 0 :: v_dual_add_nc_u32 v16, 1, v16
	s_mov_b32 s26, -1
	s_mov_b32 s25, exec_lo
	s_delay_alu instid0(VALU_DEP_1)
	v_cmpx_eq_u32_e32 0x2710, v16
	s_cbranch_execz .LBB4_88
; %bb.92:                               ;   in Loop: Header=BB4_90 Depth=3
	s_cbranch_execnz .LBB4_243
; %bb.93:                               ;   in Loop: Header=BB4_90 Depth=3
	ds_load_b64 v[20:21], v0
	v_dual_mov_b32 v16, 0 :: v_dual_mov_b32 v135, 0
	s_mov_b32 s27, -1
	s_mov_b32 s26, exec_lo
	s_waitcnt vmcnt(0) lgkmcnt(0)
	s_waitcnt_vscnt null, 0x0
	flat_load_b32 v20, v[20:21] glc
	s_waitcnt vmcnt(0) lgkmcnt(0)
	buffer_gl1_inv
	buffer_gl0_inv
	v_cmpx_ne_u32_e32 0, v20
	s_cbranch_execz .LBB4_87
; %bb.94:                               ;   in Loop: Header=BB4_90 Depth=3
	ds_store_b32 v0, v20
	s_cbranch_execnz .LBB4_270
; %bb.95:                               ;   in Loop: Header=BB4_90 Depth=3
	v_mov_b32_e32 v135, 1
	s_xor_b32 s27, exec_lo, -1
	s_branch .LBB4_87
.LBB4_96:                               ;   in Loop: Header=BB4_83 Depth=2
	s_or_b32 exec_lo, exec_lo, s22
.LBB4_97:                               ;   in Loop: Header=BB4_83 Depth=2
	s_delay_alu instid0(SALU_CYCLE_1)
	s_or_b32 exec_lo, exec_lo, s21
.LBB4_98:                               ;   in Loop: Header=BB4_83 Depth=2
	s_delay_alu instid0(SALU_CYCLE_1)
	s_or_b32 exec_lo, exec_lo, s12
	s_and_saveexec_b32 s12, s2
	s_cbranch_execz .LBB4_100
; %bb.99:                               ;   in Loop: Header=BB4_83 Depth=2
	v_dual_mov_b32 v21, v118 :: v_dual_and_b32 v20, 0x7ffffff8, v15
	v_and_b32_e32 v16, 7, v15
	s_delay_alu instid0(VALU_DEP_2) | instskip(NEXT) | instid1(VALU_DEP_2)
	v_cmp_eq_u64_e32 vcc_lo, 0x7ffffff8, v[20:21]
	v_mad_u64_u32 v[20:21], null, v16, 24, v[13:14]
	v_cndmask_b32_e64 v15, v145, s15, vcc_lo
	s_delay_alu instid0(VALU_DEP_1)
	v_ashrrev_i32_e32 v16, 31, v15
	flat_store_b64 v[20:21], v[15:16] offset:8 dlc
	s_waitcnt_vscnt null, 0x0
.LBB4_100:                              ;   in Loop: Header=BB4_83 Depth=2
	s_or_b32 exec_lo, exec_lo, s12
	v_dual_mov_b32 v15, v17 :: v_dual_mov_b32 v16, v18
.LBB4_101:                              ;   in Loop: Header=BB4_83 Depth=2
	s_or_b32 exec_lo, exec_lo, s11
	s_and_saveexec_b32 s11, s3
	s_cbranch_execz .LBB4_123
; %bb.102:                              ;   in Loop: Header=BB4_83 Depth=2
	s_and_saveexec_b32 s12, s4
	s_delay_alu instid0(SALU_CYCLE_1)
	s_xor_b32 s12, exec_lo, s12
	s_cbranch_execz .LBB4_120
; %bb.103:                              ;   in Loop: Header=BB4_83 Depth=2
	s_and_saveexec_b32 s21, s5
	s_cbranch_execz .LBB4_119
; %bb.104:                              ;   in Loop: Header=BB4_83 Depth=2
	s_mov_b32 s23, exec_lo
	s_mov_b32 s22, exec_lo
	v_mbcnt_lo_u32_b32 v17, s23, 0
	s_waitcnt vmcnt(0) lgkmcnt(0)
	s_waitcnt_vscnt null, 0x0
	buffer_gl1_inv
	buffer_gl0_inv
	v_cmpx_eq_u32_e32 0, v17
	s_cbranch_execz .LBB4_106
; %bb.105:                              ;   in Loop: Header=BB4_83 Depth=2
	s_bcnt1_i32_b32 s23, s23
	s_delay_alu instid0(SALU_CYCLE_1)
	v_dual_mov_b32 v18, v118 :: v_dual_mov_b32 v17, s23
	ds_add_u64 v0, v[17:18]
	s_cbranch_execnz .LBB4_268
.LBB4_106:                              ;   in Loop: Header=BB4_83 Depth=2
	s_or_b32 exec_lo, exec_lo, s22
	s_cbranch_execnz .LBB4_262
; %bb.107:                              ;   in Loop: Header=BB4_83 Depth=2
	ds_load_b64 v[17:18], v0
	v_add_co_u32 v2, vcc_lo, v2, v119
	v_add_co_ci_u32_e32 v3, vcc_lo, v3, v69, vcc_lo
	s_mov_b32 s22, exec_lo
	s_waitcnt lgkmcnt(0)
	s_delay_alu instid0(VALU_DEP_1)
	v_cmpx_lt_u64_e64 v[17:18], v[2:3]
	s_cbranch_execz .LBB4_118
; %bb.108:                              ;   in Loop: Header=BB4_83 Depth=2
	s_mov_b32 s23, 0
	s_mov_b32 s26, 0
                                        ; implicit-def: $sgpr24
                                        ; implicit-def: $sgpr25
	s_branch .LBB4_110
.LBB4_109:                              ;   in Loop: Header=BB4_110 Depth=3
	s_or_b32 exec_lo, exec_lo, s29
	s_delay_alu instid0(SALU_CYCLE_1) | instskip(NEXT) | instid1(SALU_CYCLE_1)
	s_and_b32 s27, exec_lo, s28
	s_or_b32 s23, s27, s23
	s_and_not1_b32 s24, s24, exec_lo
	s_and_b32 s27, s25, exec_lo
	s_delay_alu instid0(SALU_CYCLE_1)
	s_or_b32 s24, s24, s27
	s_and_not1_b32 exec_lo, exec_lo, s23
	s_cbranch_execz .LBB4_116
.LBB4_110:                              ;   Parent Loop BB4_32 Depth=1
                                        ;     Parent Loop BB4_83 Depth=2
                                        ; =>    This Inner Loop Header: Depth=3
	s_add_i32 s26, s26, 1
                                        ; implicit-def: $sgpr28
	s_delay_alu instid0(SALU_CYCLE_1) | instskip(SKIP_1) | instid1(SALU_CYCLE_1)
	s_cmpk_lg_i32 s26, 0x2710
	s_cselect_b32 s27, -1, 0
	s_and_b32 vcc_lo, exec_lo, s27
	s_cbranch_vccz .LBB4_114
.LBB4_111:                              ;   in Loop: Header=BB4_110 Depth=3
	s_and_not1_b32 s25, s25, exec_lo
	s_and_b32 s29, s28, exec_lo
	s_mov_b32 s28, -1
	s_or_b32 s25, s25, s29
	s_and_saveexec_b32 s29, s27
	s_cbranch_execz .LBB4_109
; %bb.112:                              ;   in Loop: Header=BB4_110 Depth=3
	s_sleep 1
	s_cbranch_execnz .LBB4_286
; %bb.113:                              ;   in Loop: Header=BB4_110 Depth=3
	ds_load_b64 v[17:18], v0
	s_and_not1_b32 s25, s25, exec_lo
	s_waitcnt lgkmcnt(0)
	v_cmp_ge_u64_e32 vcc_lo, v[17:18], v[2:3]
	s_or_not1_b32 s28, vcc_lo, exec_lo
	s_branch .LBB4_109
.LBB4_114:                              ;   in Loop: Header=BB4_110 Depth=3
	s_cbranch_execnz .LBB4_290
; %bb.115:                              ;   in Loop: Header=BB4_110 Depth=3
	ds_load_b64 v[17:18], v0
	s_and_not1_b32 s27, s27, exec_lo
	s_mov_b32 s26, 0
	s_mov_b32 s28, -1
	s_waitcnt lgkmcnt(0)
	flat_load_b32 v17, v[17:18] glc
	s_waitcnt vmcnt(0) lgkmcnt(0)
	buffer_gl1_inv
	buffer_gl0_inv
	v_cmp_eq_u32_e32 vcc_lo, 0, v17
	s_and_b32 s29, vcc_lo, exec_lo
	s_delay_alu instid0(SALU_CYCLE_1)
	s_or_b32 s27, s27, s29
	s_branch .LBB4_111
.LBB4_116:                              ;   in Loop: Header=BB4_83 Depth=2
	s_or_b32 exec_lo, exec_lo, s23
	s_and_saveexec_b32 s23, s24
	s_delay_alu instid0(SALU_CYCLE_1)
	s_xor_b32 s23, exec_lo, s23
	s_cbranch_execz .LBB4_118
; %bb.117:                              ;   in Loop: Header=BB4_83 Depth=2
	ds_store_b32 v0, v71
	s_cbranch_execnz .LBB4_311
.LBB4_118:                              ;   in Loop: Header=BB4_83 Depth=2
	s_or_b32 exec_lo, exec_lo, s22
	;;#ASMSTART
	s_wakeup
	;;#ASMEND
.LBB4_119:                              ;   in Loop: Header=BB4_83 Depth=2
	s_or_b32 exec_lo, exec_lo, s21
.LBB4_120:                              ;   in Loop: Header=BB4_83 Depth=2
	s_and_not1_saveexec_b32 s12, s12
	s_cbranch_execz .LBB4_122
; %bb.121:                              ;   in Loop: Header=BB4_83 Depth=2
	s_waitcnt vmcnt(0) lgkmcnt(0)
	s_waitcnt_vscnt null, 0x0
	buffer_gl1_inv
	buffer_gl0_inv
	s_barrier
.LBB4_122:                              ;   in Loop: Header=BB4_83 Depth=2
	s_or_b32 exec_lo, exec_lo, s12
.LBB4_123:                              ;   in Loop: Header=BB4_83 Depth=2
	s_delay_alu instid0(SALU_CYCLE_1)
	s_or_b32 exec_lo, exec_lo, s11
	v_mov_b32_e32 v100, v4
	s_and_saveexec_b32 s21, s10
	s_cbranch_execz .LBB4_143
; %bb.124:                              ;   in Loop: Header=BB4_83 Depth=2
	s_waitcnt vmcnt(0) lgkmcnt(0)
	v_ashrrev_i32_e32 v20, 31, v19
	v_mul_lo_u32 v22, v65, v19
	v_mad_u64_u32 v[17:18], null, v64, v19, 0
	v_dual_mov_b32 v100, v98 :: v_dual_and_b32 v19, 7, v32
	s_delay_alu instid0(VALU_DEP_4) | instskip(SKIP_2) | instid1(VALU_DEP_4)
	v_mul_lo_u32 v20, v64, v20
	v_and_b32_e32 v21, 7, v98
	v_add_nc_u32_e32 v149, 1, v32
	v_mul_lo_u32 v19, v19, s17
	v_mov_b32_e32 v163, v144
	s_mov_b32 s22, 0
	v_mul_lo_u32 v21, v21, s17
                                        ; implicit-def: $vgpr112_vgpr113
	v_add3_u32 v18, v18, v20, v22
	s_delay_alu instid0(VALU_DEP_4) | instskip(NEXT) | instid1(VALU_DEP_2)
	v_ashrrev_i32_e32 v20, 31, v19
	v_lshlrev_b64 v[17:18], 2, v[17:18]
	s_delay_alu instid0(VALU_DEP_4) | instskip(NEXT) | instid1(VALU_DEP_3)
	v_ashrrev_i32_e32 v22, 31, v21
	v_lshlrev_b64 v[19:20], 4, v[19:20]
	s_delay_alu instid0(VALU_DEP_2) | instskip(NEXT) | instid1(VALU_DEP_4)
	v_lshlrev_b64 v[21:22], 4, v[21:22]
	v_add_co_u32 v102, vcc_lo, v146, v17
	v_add_co_ci_u32_e32 v103, vcc_lo, v147, v18, vcc_lo
	s_delay_alu instid0(VALU_DEP_4)
	v_add_co_u32 v150, vcc_lo, v29, v19
	v_add_co_ci_u32_e32 v151, vcc_lo, v30, v20, vcc_lo
	v_add_co_u32 v160, vcc_lo, v38, v21
	v_add_co_ci_u32_e32 v161, vcc_lo, v39, v22, vcc_lo
	;; [unrolled: 2-line block ×3, first 2 shown]
	v_mov_b32_e32 v100, v4
	s_branch .LBB4_128
.LBB4_125:                              ;   in Loop: Header=BB4_128 Depth=3
	s_or_b32 exec_lo, exec_lo, s24
	s_xor_b32 s11, s25, -1
	s_delay_alu instid0(SALU_CYCLE_1) | instskip(NEXT) | instid1(SALU_CYCLE_1)
	s_and_saveexec_b32 s24, s11
	s_xor_b32 s11, exec_lo, s24
	s_delay_alu instid0(SALU_CYCLE_1) | instskip(NEXT) | instid1(SALU_CYCLE_1)
	s_and_not1_saveexec_b32 s11, s11
	s_or_b32 exec_lo, exec_lo, s11
.LBB4_126:                              ;   in Loop: Header=BB4_128 Depth=3
	s_delay_alu instid0(SALU_CYCLE_1)
	s_or_b32 exec_lo, exec_lo, s12
.LBB4_127:                              ;   in Loop: Header=BB4_128 Depth=3
	s_delay_alu instid0(SALU_CYCLE_1)
	s_or_b32 exec_lo, exec_lo, s23
	s_waitcnt vmcnt(0) lgkmcnt(0)
	v_max_f32_e32 v17, v17, v17
	v_dual_max_f32 v19, v19, v19 :: v_dual_max_f32 v20, v113, v113
	v_max_f32_e32 v21, v21, v21
	v_add_co_u32 v102, vcc_lo, v102, v86
	s_delay_alu instid0(VALU_DEP_3) | instskip(SKIP_1) | instid1(VALU_DEP_4)
	v_min_f32_e32 v22, v19, v17
	v_max_f32_e32 v17, v19, v17
	v_min_f32_e32 v19, v21, v20
	v_max_f32_e32 v20, v21, v20
	v_sub_nc_u32_e32 v163, v163, v70
	v_add_co_ci_u32_e32 v103, vcc_lo, v103, v87, vcc_lo
	v_cndmask_b32_e64 v17, v22, v17, s6
	s_delay_alu instid0(VALU_DEP_4)
	v_cndmask_b32_e64 v19, v19, v20, s6
	v_add_co_u32 v21, vcc_lo, v160, v114
	v_add_co_ci_u32_e32 v22, vcc_lo, v161, v115, vcc_lo
	v_cmp_gt_i32_e32 vcc_lo, 1, v163
	v_or_b32_e32 v17, v162, v17
	v_or_b32_e32 v19, v162, v19
	v_mov_b32_e32 v20, v18
	v_add_nc_u32_e32 v100, v100, v1
	s_or_b32 s22, vcc_lo, s22
	global_store_b128 v[21:22], v[17:20], off
	s_and_not1_b32 exec_lo, exec_lo, s22
	s_cbranch_execz .LBB4_142
.LBB4_128:                              ;   Parent Loop BB4_32 Depth=1
                                        ;     Parent Loop BB4_83 Depth=2
                                        ; =>    This Loop Header: Depth=3
                                        ;         Child Loop BB4_134 Depth 4
	flat_load_b32 v17, v[102:103] glc
	s_mov_b32 s11, exec_lo
	v_cmpx_ne_u32_e32 1, v163
	s_cbranch_execz .LBB4_130
; %bb.129:                              ;   in Loop: Header=BB4_128 Depth=3
	flat_load_b32 v113, v[102:103] offset:4 glc
.LBB4_130:                              ;   in Loop: Header=BB4_128 Depth=3
	s_or_b32 exec_lo, exec_lo, s11
	v_ashrrev_i32_e32 v101, 31, v100
	s_delay_alu instid0(VALU_DEP_1) | instskip(NEXT) | instid1(VALU_DEP_1)
	v_lshlrev_b64 v[114:115], 4, v[100:101]
	v_add_co_u32 v116, vcc_lo, v150, v114
	s_delay_alu instid0(VALU_DEP_2)
	v_add_co_ci_u32_e32 v117, vcc_lo, v151, v115, vcc_lo
	v_cmp_eq_u32_e32 vcc_lo, 0, v135
	;;#ASMSTART
	global_load_b128 v[19:22], v[116:117], off glc slc dlc
s_waitcnt vmcnt(0)

	;;#ASMEND
	s_and_saveexec_b32 s23, vcc_lo
	s_cbranch_execz .LBB4_127
; %bb.131:                              ;   in Loop: Header=BB4_128 Depth=3
	v_cmp_ne_u32_e64 s11, v149, v20
	v_cmp_ne_u32_e64 s12, v149, v22
	v_mov_b32_e32 v135, 0
	s_delay_alu instid0(VALU_DEP_2) | instskip(NEXT) | instid1(SALU_CYCLE_1)
	s_or_b32 s11, s11, s12
	s_and_saveexec_b32 s12, s11
	s_cbranch_execz .LBB4_126
; %bb.132:                              ;   in Loop: Header=BB4_128 Depth=3
	v_cndmask_b32_e64 v101, 0, 1, vcc_lo
	s_mov_b32 s24, 0
                                        ; implicit-def: $sgpr25
                                        ; implicit-def: $sgpr26
	s_branch .LBB4_134
.LBB4_133:                              ;   in Loop: Header=BB4_134 Depth=4
	s_or_b32 exec_lo, exec_lo, s27
	s_delay_alu instid0(SALU_CYCLE_1) | instskip(NEXT) | instid1(SALU_CYCLE_1)
	s_and_b32 s11, exec_lo, s11
	s_or_b32 s24, s11, s24
	s_and_not1_b32 s11, s25, exec_lo
	s_and_b32 s25, s26, exec_lo
	s_delay_alu instid0(SALU_CYCLE_1)
	s_or_b32 s25, s11, s25
	s_and_not1_b32 exec_lo, exec_lo, s24
	s_cbranch_execz .LBB4_125
.LBB4_134:                              ;   Parent Loop BB4_32 Depth=1
                                        ;     Parent Loop BB4_83 Depth=2
                                        ;       Parent Loop BB4_128 Depth=3
                                        ; =>      This Inner Loop Header: Depth=4
	s_delay_alu instid0(VALU_DEP_1)
	v_add_nc_u32_e32 v101, 1, v101
	v_mov_b32_e32 v135, 0
	s_mov_b32 s11, -1
	s_mov_b32 s28, -1
	s_mov_b32 s27, exec_lo
	;;#ASMSTART
	global_load_b128 v[19:22], v[116:117], off glc slc dlc
s_waitcnt vmcnt(0)

	;;#ASMEND
	v_cmpx_eq_u32_e32 0x2710, v101
	s_cbranch_execz .LBB4_140
; %bb.135:                              ;   in Loop: Header=BB4_134 Depth=4
	s_cbranch_execnz .LBB4_237
; %bb.136:                              ;   in Loop: Header=BB4_134 Depth=4
	ds_load_b64 v[164:165], v0
	v_mov_b32_e32 v101, 0
	v_mov_b32_e32 v135, 0
	s_mov_b32 s29, -1
	s_mov_b32 s28, exec_lo
	s_waitcnt vmcnt(0) lgkmcnt(0)
	s_waitcnt_vscnt null, 0x0
	flat_load_b32 v112, v[164:165] glc
	s_waitcnt vmcnt(0) lgkmcnt(0)
	buffer_gl1_inv
	buffer_gl0_inv
	v_cmpx_ne_u32_e32 0, v112
	s_cbranch_execz .LBB4_139
; %bb.137:                              ;   in Loop: Header=BB4_134 Depth=4
	ds_store_b32 v0, v112
	s_cbranch_execnz .LBB4_245
; %bb.138:                              ;   in Loop: Header=BB4_134 Depth=4
	v_mov_b32_e32 v135, 1
	s_xor_b32 s29, exec_lo, -1
.LBB4_139:                              ;   in Loop: Header=BB4_134 Depth=4
	s_or_b32 exec_lo, exec_lo, s28
	s_delay_alu instid0(SALU_CYCLE_1)
	s_or_not1_b32 s28, s29, exec_lo
.LBB4_140:                              ;   in Loop: Header=BB4_134 Depth=4
	s_or_b32 exec_lo, exec_lo, s27
	s_delay_alu instid0(SALU_CYCLE_1)
	s_or_b32 s26, s26, exec_lo
	s_and_saveexec_b32 s27, s28
	s_cbranch_execz .LBB4_133
; %bb.141:                              ;   in Loop: Header=BB4_134 Depth=4
	v_cmp_eq_u32_e32 vcc_lo, v149, v20
	v_cmp_eq_u32_e64 s11, v149, v22
	s_and_not1_b32 s26, s26, exec_lo
	s_delay_alu instid0(VALU_DEP_1) | instskip(NEXT) | instid1(SALU_CYCLE_1)
	s_and_b32 s11, vcc_lo, s11
	s_or_not1_b32 s11, s11, exec_lo
	s_branch .LBB4_133
.LBB4_142:                              ;   in Loop: Header=BB4_83 Depth=2
	s_or_b32 exec_lo, exec_lo, s22
.LBB4_143:                              ;   in Loop: Header=BB4_83 Depth=2
	s_delay_alu instid0(SALU_CYCLE_1)
	s_or_b32 exec_lo, exec_lo, s21
	s_and_saveexec_b32 s11, s3
	s_cbranch_execz .LBB4_165
; %bb.144:                              ;   in Loop: Header=BB4_83 Depth=2
	s_and_saveexec_b32 s12, s4
	s_delay_alu instid0(SALU_CYCLE_1)
	s_xor_b32 s12, exec_lo, s12
	s_cbranch_execz .LBB4_162
; %bb.145:                              ;   in Loop: Header=BB4_83 Depth=2
	s_and_saveexec_b32 s21, s5
	s_cbranch_execz .LBB4_161
; %bb.146:                              ;   in Loop: Header=BB4_83 Depth=2
	s_mov_b32 s23, exec_lo
	s_mov_b32 s22, exec_lo
	v_mbcnt_lo_u32_b32 v17, s23, 0
	s_waitcnt vmcnt(0) lgkmcnt(0)
	s_waitcnt_vscnt null, 0x0
	buffer_gl1_inv
	buffer_gl0_inv
	v_cmpx_eq_u32_e32 0, v17
	s_cbranch_execz .LBB4_148
; %bb.147:                              ;   in Loop: Header=BB4_83 Depth=2
	s_bcnt1_i32_b32 s23, s23
	s_delay_alu instid0(SALU_CYCLE_1)
	v_dual_mov_b32 v18, v118 :: v_dual_mov_b32 v17, s23
	ds_add_u64 v0, v[17:18]
	s_cbranch_execnz .LBB4_280
.LBB4_148:                              ;   in Loop: Header=BB4_83 Depth=2
	s_or_b32 exec_lo, exec_lo, s22
	s_cbranch_execnz .LBB4_272
; %bb.149:                              ;   in Loop: Header=BB4_83 Depth=2
	ds_load_b64 v[17:18], v0
	v_add_co_u32 v2, vcc_lo, v2, v119
	v_add_co_ci_u32_e32 v3, vcc_lo, v3, v69, vcc_lo
	s_mov_b32 s22, exec_lo
	s_waitcnt lgkmcnt(0)
	s_delay_alu instid0(VALU_DEP_1)
	v_cmpx_lt_u64_e64 v[17:18], v[2:3]
	s_cbranch_execz .LBB4_160
; %bb.150:                              ;   in Loop: Header=BB4_83 Depth=2
	s_mov_b32 s23, 0
	s_mov_b32 s26, 0
                                        ; implicit-def: $sgpr24
                                        ; implicit-def: $sgpr25
	s_branch .LBB4_152
.LBB4_151:                              ;   in Loop: Header=BB4_152 Depth=3
	s_or_b32 exec_lo, exec_lo, s29
	s_delay_alu instid0(SALU_CYCLE_1) | instskip(NEXT) | instid1(SALU_CYCLE_1)
	s_and_b32 s27, exec_lo, s28
	s_or_b32 s23, s27, s23
	s_and_not1_b32 s24, s24, exec_lo
	s_and_b32 s27, s25, exec_lo
	s_delay_alu instid0(SALU_CYCLE_1)
	s_or_b32 s24, s24, s27
	s_and_not1_b32 exec_lo, exec_lo, s23
	s_cbranch_execz .LBB4_158
.LBB4_152:                              ;   Parent Loop BB4_32 Depth=1
                                        ;     Parent Loop BB4_83 Depth=2
                                        ; =>    This Inner Loop Header: Depth=3
	s_add_i32 s26, s26, 1
                                        ; implicit-def: $sgpr28
	s_delay_alu instid0(SALU_CYCLE_1) | instskip(SKIP_1) | instid1(SALU_CYCLE_1)
	s_cmpk_lg_i32 s26, 0x2710
	s_cselect_b32 s27, -1, 0
	s_and_b32 vcc_lo, exec_lo, s27
	s_cbranch_vccz .LBB4_156
.LBB4_153:                              ;   in Loop: Header=BB4_152 Depth=3
	s_and_not1_b32 s25, s25, exec_lo
	s_and_b32 s29, s28, exec_lo
	s_mov_b32 s28, -1
	s_or_b32 s25, s25, s29
	s_and_saveexec_b32 s29, s27
	s_cbranch_execz .LBB4_151
; %bb.154:                              ;   in Loop: Header=BB4_152 Depth=3
	s_sleep 1
	s_cbranch_execnz .LBB4_292
; %bb.155:                              ;   in Loop: Header=BB4_152 Depth=3
	ds_load_b64 v[17:18], v0
	s_and_not1_b32 s25, s25, exec_lo
	s_waitcnt lgkmcnt(0)
	v_cmp_ge_u64_e32 vcc_lo, v[17:18], v[2:3]
	s_or_not1_b32 s28, vcc_lo, exec_lo
	s_branch .LBB4_151
.LBB4_156:                              ;   in Loop: Header=BB4_152 Depth=3
	s_cbranch_execnz .LBB4_294
; %bb.157:                              ;   in Loop: Header=BB4_152 Depth=3
	ds_load_b64 v[17:18], v0
	s_and_not1_b32 s27, s27, exec_lo
	s_mov_b32 s26, 0
	s_mov_b32 s28, -1
	s_waitcnt lgkmcnt(0)
	flat_load_b32 v17, v[17:18] glc
	s_waitcnt vmcnt(0) lgkmcnt(0)
	buffer_gl1_inv
	buffer_gl0_inv
	v_cmp_eq_u32_e32 vcc_lo, 0, v17
	s_and_b32 s29, vcc_lo, exec_lo
	s_delay_alu instid0(SALU_CYCLE_1)
	s_or_b32 s27, s27, s29
	s_branch .LBB4_153
.LBB4_158:                              ;   in Loop: Header=BB4_83 Depth=2
	s_or_b32 exec_lo, exec_lo, s23
	s_and_saveexec_b32 s23, s24
	s_delay_alu instid0(SALU_CYCLE_1)
	s_xor_b32 s23, exec_lo, s23
	s_cbranch_execz .LBB4_160
; %bb.159:                              ;   in Loop: Header=BB4_83 Depth=2
	ds_store_b32 v0, v71
	s_cbranch_execnz .LBB4_313
.LBB4_160:                              ;   in Loop: Header=BB4_83 Depth=2
	s_or_b32 exec_lo, exec_lo, s22
	;;#ASMSTART
	s_wakeup
	;;#ASMEND
.LBB4_161:                              ;   in Loop: Header=BB4_83 Depth=2
	s_or_b32 exec_lo, exec_lo, s21
.LBB4_162:                              ;   in Loop: Header=BB4_83 Depth=2
	s_and_not1_saveexec_b32 s12, s12
	s_cbranch_execz .LBB4_164
; %bb.163:                              ;   in Loop: Header=BB4_83 Depth=2
	s_waitcnt vmcnt(0) lgkmcnt(0)
	s_waitcnt_vscnt null, 0x0
	buffer_gl1_inv
	buffer_gl0_inv
	s_barrier
.LBB4_164:                              ;   in Loop: Header=BB4_83 Depth=2
	s_or_b32 exec_lo, exec_lo, s12
.LBB4_165:                              ;   in Loop: Header=BB4_83 Depth=2
	s_delay_alu instid0(SALU_CYCLE_1)
	s_or_b32 exec_lo, exec_lo, s11
	s_and_saveexec_b32 s11, s7
	s_cbranch_execz .LBB4_167
; %bb.166:                              ;   in Loop: Header=BB4_83 Depth=2
	v_add_co_u32 v48, vcc_lo, v48, 1
	v_add_co_ci_u32_e32 v49, vcc_lo, 0, v49, vcc_lo
	s_waitcnt vmcnt(0) lgkmcnt(0)
	s_waitcnt_vscnt null, 0x0
	flat_store_b64 v[36:37], v[48:49]
.LBB4_167:                              ;   in Loop: Header=BB4_83 Depth=2
	s_or_b32 exec_lo, exec_lo, s11
	v_dual_mov_b32 v18, v118 :: v_dual_and_b32 v17, 0x7ffffff8, v98
	v_cmp_gt_i32_e64 s11, s17, v100
	s_delay_alu instid0(VALU_DEP_2) | instskip(NEXT) | instid1(VALU_DEP_2)
	v_cmp_eq_u64_e32 vcc_lo, 0x7ffffff8, v[17:18]
	s_and_b32 s11, vcc_lo, s11
	s_delay_alu instid0(SALU_CYCLE_1)
	s_and_saveexec_b32 s12, s11
	s_cbranch_execz .LBB4_170
; %bb.168:                              ;   in Loop: Header=BB4_83 Depth=2
	v_and_b32_e32 v17, 7, v148
	v_ashrrev_i32_e32 v101, 31, v100
	v_mov_b32_e32 v21, v98
	s_mov_b32 s21, 0
	s_delay_alu instid0(VALU_DEP_3) | instskip(SKIP_2) | instid1(VALU_DEP_2)
	v_mul_lo_u32 v17, s17, v17
	s_waitcnt vmcnt(0) lgkmcnt(0)
	v_lshlrev_b64 v[19:20], 4, v[100:101]
	v_ashrrev_i32_e32 v18, 31, v17
	s_delay_alu instid0(VALU_DEP_1) | instskip(NEXT) | instid1(VALU_DEP_1)
	v_lshlrev_b64 v[17:18], 4, v[17:18]
	v_add_co_u32 v19, vcc_lo, v19, v17
	s_delay_alu instid0(VALU_DEP_2) | instskip(SKIP_2) | instid1(VALU_DEP_4)
	v_add_co_ci_u32_e32 v20, vcc_lo, v20, v18, vcc_lo
	v_add_co_u32 v17, vcc_lo, 0, 0
	v_add_co_ci_u32_e32 v18, vcc_lo, 1, v21, vcc_lo
	v_add_co_u32 v21, vcc_lo, v38, v19
	s_delay_alu instid0(VALU_DEP_4)
	v_add_co_ci_u32_e32 v22, vcc_lo, v39, v20, vcc_lo
.LBB4_169:                              ;   Parent Loop BB4_32 Depth=1
                                        ;     Parent Loop BB4_83 Depth=2
                                        ; =>    This Inner Loop Header: Depth=3
	s_delay_alu instid0(VALU_DEP_4) | instskip(NEXT) | instid1(VALU_DEP_4)
	v_dual_mov_b32 v19, v17 :: v_dual_add_nc_u32 v100, v100, v1
	v_mov_b32_e32 v20, v18
	s_delay_alu instid0(VALU_DEP_2) | instskip(SKIP_2) | instid1(VALU_DEP_1)
	v_cmp_le_i32_e32 vcc_lo, s17, v100
	global_store_b128 v[21:22], v[17:20], off
	v_add_co_u32 v21, s11, v21, v5
	v_add_co_ci_u32_e64 v22, s11, v22, v6, s11
	s_or_b32 s21, vcc_lo, s21
	s_delay_alu instid0(SALU_CYCLE_1)
	s_and_not1_b32 exec_lo, exec_lo, s21
	s_cbranch_execnz .LBB4_169
.LBB4_170:                              ;   in Loop: Header=BB4_83 Depth=2
	s_or_b32 exec_lo, exec_lo, s12
	v_add_co_u32 v32, vcc_lo, v32, 1
	v_add_co_ci_u32_e32 v33, vcc_lo, 0, v33, vcc_lo
	v_add_co_u32 v98, vcc_lo, v98, 1
	v_add_co_ci_u32_e32 v99, vcc_lo, 0, v99, vcc_lo
	v_add_nc_u16 v148, v148, 1
	s_add_i32 s20, s20, 1
	s_delay_alu instid0(SALU_CYCLE_1)
	s_cmp_eq_u32 s20, s14
	s_cbranch_scc0 .LBB4_83
.LBB4_171:                              ;   in Loop: Header=BB4_32 Depth=1
	s_delay_alu instid0(VALU_DEP_1)
	v_dual_mov_b32 v21, v98 :: v_dual_mov_b32 v22, v99
	s_and_saveexec_b32 s20, s10
	s_cbranch_execz .LBB4_197
; %bb.172:                              ;   in Loop: Header=BB4_32 Depth=1
	s_waitcnt vmcnt(0) lgkmcnt(0)
	flat_load_b32 v19, v[23:24]
	v_and_b32_e32 v98, 7, v32
	v_add_nc_u32_e32 v103, 1, v32
	s_mov_b32 s21, 0
	s_delay_alu instid0(VALU_DEP_2) | instskip(SKIP_4) | instid1(VALU_DEP_3)
	v_mul_lo_u32 v98, v98, s17
	s_waitcnt vmcnt(0) lgkmcnt(0)
	v_ashrrev_i32_e32 v20, 31, v19
	v_mul_lo_u32 v99, v65, v19
	v_mad_u64_u32 v[17:18], null, v64, v19, 0
	v_mul_lo_u32 v100, v64, v20
	v_lshlrev_b64 v[19:20], 2, v[96:97]
	s_delay_alu instid0(VALU_DEP_2) | instskip(NEXT) | instid1(VALU_DEP_2)
	v_add3_u32 v18, v18, v100, v99
	v_add_co_u32 v100, vcc_lo, v11, v19
	v_ashrrev_i32_e32 v99, 31, v98
	s_delay_alu instid0(VALU_DEP_4) | instskip(NEXT) | instid1(VALU_DEP_4)
	v_add_co_ci_u32_e32 v101, vcc_lo, v12, v20, vcc_lo
	v_lshlrev_b64 v[17:18], 2, v[17:18]
	v_add_co_u32 v96, vcc_lo, v130, v19
	v_add_co_ci_u32_e32 v97, vcc_lo, v131, v20, vcc_lo
	v_lshlrev_b64 v[19:20], 4, v[98:99]
	s_delay_alu instid0(VALU_DEP_4) | instskip(SKIP_2) | instid1(VALU_DEP_4)
	v_add_co_u32 v17, vcc_lo, v100, v17
	v_mov_b32_e32 v100, v4
	v_add_co_ci_u32_e32 v18, vcc_lo, v101, v18, vcc_lo
	v_add_co_u32 v114, vcc_lo, v29, v19
	v_add_co_ci_u32_e32 v115, vcc_lo, v30, v20, vcc_lo
	v_add_co_u32 v98, vcc_lo, v17, v80
	s_delay_alu instid0(VALU_DEP_4)
	v_add_co_ci_u32_e32 v99, vcc_lo, v18, v81, vcc_lo
                                        ; implicit-def: $vgpr101_vgpr102
	s_branch .LBB4_174
.LBB4_173:                              ;   in Loop: Header=BB4_174 Depth=2
	v_sub_nc_u32_e32 v144, v144, v70
	v_add_co_u32 v98, vcc_lo, v98, v86
	v_add_co_ci_u32_e32 v99, vcc_lo, v99, v87, vcc_lo
	s_delay_alu instid0(VALU_DEP_3) | instskip(SKIP_1) | instid1(VALU_DEP_1)
	v_cmp_gt_i32_e32 vcc_lo, 1, v144
	v_add_co_u32 v96, s10, v96, v86
	v_add_co_ci_u32_e64 v97, s10, v97, v87, s10
	v_add_nc_u32_e32 v100, v100, v1
	s_or_b32 s21, vcc_lo, s21
	s_delay_alu instid0(SALU_CYCLE_1)
	s_and_not1_b32 exec_lo, exec_lo, s21
	s_cbranch_execz .LBB4_196
.LBB4_174:                              ;   Parent Loop BB4_32 Depth=1
                                        ; =>  This Loop Header: Depth=2
                                        ;       Child Loop BB4_180 Depth 3
	flat_load_b32 v116, v[98:99] glc
	v_cmp_ne_u32_e32 vcc_lo, 1, v144
	s_and_saveexec_b32 s10, vcc_lo
	s_cbranch_execz .LBB4_176
; %bb.175:                              ;   in Loop: Header=BB4_174 Depth=2
	flat_load_b32 v102, v[98:99] offset:4 glc
.LBB4_176:                              ;   in Loop: Header=BB4_174 Depth=2
	s_or_b32 exec_lo, exec_lo, s10
	v_ashrrev_i32_e32 v101, 31, v100
	s_delay_alu instid0(VALU_DEP_1) | instskip(NEXT) | instid1(VALU_DEP_1)
	v_lshlrev_b64 v[17:18], 4, v[100:101]
	v_add_co_u32 v112, s10, v114, v17
	s_delay_alu instid0(VALU_DEP_1) | instskip(SKIP_2) | instid1(VALU_DEP_1)
	v_add_co_ci_u32_e64 v113, s10, v115, v18, s10
	v_cmp_eq_u32_e64 s10, 0, v135
	;;#ASMSTART
	global_load_b128 v[17:20], v[112:113], off glc slc dlc
s_waitcnt vmcnt(0)

	;;#ASMEND
	s_and_saveexec_b32 s22, s10
	s_cbranch_execz .LBB4_190
; %bb.177:                              ;   in Loop: Header=BB4_174 Depth=2
	v_cmp_ne_u32_e64 s11, v103, v18
	v_cmp_ne_u32_e64 s12, v103, v20
	v_mov_b32_e32 v135, 0
	s_delay_alu instid0(VALU_DEP_2) | instskip(NEXT) | instid1(SALU_CYCLE_1)
	s_or_b32 s11, s11, s12
	s_and_saveexec_b32 s12, s11
	s_cbranch_execz .LBB4_189
; %bb.178:                              ;   in Loop: Header=BB4_174 Depth=2
	v_cndmask_b32_e64 v101, 0, 1, s10
	s_mov_b32 s23, 0
                                        ; implicit-def: $sgpr24
                                        ; implicit-def: $sgpr25
	s_branch .LBB4_180
.LBB4_179:                              ;   in Loop: Header=BB4_180 Depth=3
	s_or_b32 exec_lo, exec_lo, s26
	s_delay_alu instid0(SALU_CYCLE_1) | instskip(NEXT) | instid1(SALU_CYCLE_1)
	s_and_b32 s10, exec_lo, s11
	s_or_b32 s23, s10, s23
	s_and_not1_b32 s10, s24, exec_lo
	s_and_b32 s11, s25, exec_lo
	s_delay_alu instid0(SALU_CYCLE_1)
	s_or_b32 s24, s10, s11
	s_and_not1_b32 exec_lo, exec_lo, s23
	s_cbranch_execz .LBB4_188
.LBB4_180:                              ;   Parent Loop BB4_32 Depth=1
                                        ;     Parent Loop BB4_174 Depth=2
                                        ; =>    This Inner Loop Header: Depth=3
	s_delay_alu instid0(VALU_DEP_1)
	v_add_nc_u32_e32 v101, 1, v101
	v_mov_b32_e32 v135, 0
	s_mov_b32 s11, -1
	s_mov_b32 s27, -1
	s_mov_b32 s26, exec_lo
	;;#ASMSTART
	global_load_b128 v[17:20], v[112:113], off glc slc dlc
s_waitcnt vmcnt(0)

	;;#ASMEND
	v_cmpx_eq_u32_e32 0x2710, v101
	s_cbranch_execz .LBB4_186
; %bb.181:                              ;   in Loop: Header=BB4_180 Depth=3
	s_cbranch_execnz .LBB4_239
; %bb.182:                              ;   in Loop: Header=BB4_180 Depth=3
	ds_load_b64 v[145:146], v0
	v_mov_b32_e32 v101, 0
	v_mov_b32_e32 v135, 0
	s_mov_b32 s28, -1
	s_mov_b32 s27, exec_lo
	s_waitcnt vmcnt(0) lgkmcnt(0)
	s_waitcnt_vscnt null, 0x0
	flat_load_b32 v117, v[145:146] glc
	s_waitcnt vmcnt(0) lgkmcnt(0)
	buffer_gl1_inv
	buffer_gl0_inv
	v_cmpx_ne_u32_e32 0, v117
	s_cbranch_execz .LBB4_185
; %bb.183:                              ;   in Loop: Header=BB4_180 Depth=3
	ds_store_b32 v0, v117
	s_cbranch_execnz .LBB4_251
; %bb.184:                              ;   in Loop: Header=BB4_180 Depth=3
	v_mov_b32_e32 v135, 1
	s_xor_b32 s28, exec_lo, -1
.LBB4_185:                              ;   in Loop: Header=BB4_180 Depth=3
	s_or_b32 exec_lo, exec_lo, s27
	s_delay_alu instid0(SALU_CYCLE_1)
	s_or_not1_b32 s27, s28, exec_lo
.LBB4_186:                              ;   in Loop: Header=BB4_180 Depth=3
	s_or_b32 exec_lo, exec_lo, s26
	s_delay_alu instid0(SALU_CYCLE_1)
	s_or_b32 s25, s25, exec_lo
	s_and_saveexec_b32 s26, s27
	s_cbranch_execz .LBB4_179
; %bb.187:                              ;   in Loop: Header=BB4_180 Depth=3
	v_cmp_eq_u32_e64 s10, v103, v18
	v_cmp_eq_u32_e64 s11, v103, v20
	s_and_not1_b32 s25, s25, exec_lo
	s_delay_alu instid0(VALU_DEP_1) | instskip(NEXT) | instid1(SALU_CYCLE_1)
	s_and_b32 s10, s10, s11
	s_or_not1_b32 s11, s10, exec_lo
	s_branch .LBB4_179
.LBB4_188:                              ;   in Loop: Header=BB4_174 Depth=2
	s_or_b32 exec_lo, exec_lo, s23
	s_xor_b32 s10, s24, -1
	s_delay_alu instid0(SALU_CYCLE_1) | instskip(NEXT) | instid1(SALU_CYCLE_1)
	s_and_saveexec_b32 s11, s10
	s_xor_b32 s10, exec_lo, s11
	s_delay_alu instid0(SALU_CYCLE_1) | instskip(NEXT) | instid1(SALU_CYCLE_1)
	s_and_not1_saveexec_b32 s10, s10
	s_or_b32 exec_lo, exec_lo, s10
.LBB4_189:                              ;   in Loop: Header=BB4_174 Depth=2
	s_delay_alu instid0(SALU_CYCLE_1)
	s_or_b32 exec_lo, exec_lo, s12
.LBB4_190:                              ;   in Loop: Header=BB4_174 Depth=2
	s_delay_alu instid0(SALU_CYCLE_1) | instskip(SKIP_4) | instid1(VALU_DEP_3)
	s_or_b32 exec_lo, exec_lo, s22
	v_cmp_ne_u32_e64 s10, 1, v144
	s_waitcnt vmcnt(0) lgkmcnt(0)
	v_dual_max_f32 v18, v116, v116 :: v_dual_max_f32 v17, v17, v17
	v_dual_max_f32 v20, v102, v102 :: v_dual_max_f32 v19, v19, v19
	s_and_b32 s10, s8, s10
	s_delay_alu instid0(VALU_DEP_2) | instskip(NEXT) | instid1(VALU_DEP_2)
	v_min_f32_e32 v112, v17, v18
	v_dual_max_f32 v17, v17, v18 :: v_dual_min_f32 v18, v19, v20
	v_max_f32_e32 v19, v19, v20
	v_cndmask_b32_e64 v101, 0, 1, s10
	;;#ASMSTART
	;;#ASMEND
	s_delay_alu instid0(VALU_DEP_1) | instskip(SKIP_2) | instid1(VALU_DEP_3)
	v_cmp_ne_u32_e64 s10, 0, v101
	v_cndmask_b32_e64 v17, v17, v112, s9
	v_cndmask_b32_e64 v18, v19, v18, s9
	s_cmp_lg_u32 s10, exec_lo
	s_mov_b32 s10, -1
	s_cbranch_scc0 .LBB4_194
; %bb.191:                              ;   in Loop: Header=BB4_174 Depth=2
	flat_store_b32 v[96:97], v17
	s_and_saveexec_b32 s10, vcc_lo
	s_cbranch_execz .LBB4_193
; %bb.192:                              ;   in Loop: Header=BB4_174 Depth=2
	flat_store_b32 v[96:97], v18 offset:4
.LBB4_193:                              ;   in Loop: Header=BB4_174 Depth=2
	s_or_b32 exec_lo, exec_lo, s10
	s_mov_b32 s10, 0
.LBB4_194:                              ;   in Loop: Header=BB4_174 Depth=2
	s_delay_alu instid0(SALU_CYCLE_1)
	s_and_not1_b32 vcc_lo, exec_lo, s10
	s_cbranch_vccnz .LBB4_173
; %bb.195:                              ;   in Loop: Header=BB4_174 Depth=2
	global_store_b64 v[96:97], v[17:18], off
	s_branch .LBB4_173
.LBB4_196:                              ;   in Loop: Header=BB4_32 Depth=1
	s_or_b32 exec_lo, exec_lo, s21
.LBB4_197:                              ;   in Loop: Header=BB4_32 Depth=1
	s_delay_alu instid0(SALU_CYCLE_1)
	s_or_b32 exec_lo, exec_lo, s20
	s_and_saveexec_b32 s10, s3
	s_cbranch_execz .LBB4_219
; %bb.198:                              ;   in Loop: Header=BB4_32 Depth=1
	s_and_saveexec_b32 s11, s4
	s_delay_alu instid0(SALU_CYCLE_1)
	s_xor_b32 s11, exec_lo, s11
	s_cbranch_execz .LBB4_216
; %bb.199:                              ;   in Loop: Header=BB4_32 Depth=1
	s_and_saveexec_b32 s12, s5
	s_cbranch_execz .LBB4_215
; %bb.200:                              ;   in Loop: Header=BB4_32 Depth=1
	s_mov_b32 s21, exec_lo
	s_mov_b32 s20, exec_lo
	v_mbcnt_lo_u32_b32 v17, s21, 0
	s_waitcnt vmcnt(0) lgkmcnt(0)
	s_waitcnt_vscnt null, 0x0
	buffer_gl1_inv
	buffer_gl0_inv
	v_cmpx_eq_u32_e32 0, v17
	s_cbranch_execz .LBB4_202
; %bb.201:                              ;   in Loop: Header=BB4_32 Depth=1
	s_bcnt1_i32_b32 s21, s21
	s_delay_alu instid0(SALU_CYCLE_1)
	v_dual_mov_b32 v18, v118 :: v_dual_mov_b32 v17, s21
	ds_add_u64 v0, v[17:18]
	s_cbranch_execnz .LBB4_288
.LBB4_202:                              ;   in Loop: Header=BB4_32 Depth=1
	s_or_b32 exec_lo, exec_lo, s20
	s_cbranch_execnz .LBB4_276
; %bb.203:                              ;   in Loop: Header=BB4_32 Depth=1
	ds_load_b64 v[17:18], v0
	v_add_co_u32 v2, vcc_lo, v2, v119
	v_add_co_ci_u32_e32 v3, vcc_lo, v3, v69, vcc_lo
	s_mov_b32 s20, exec_lo
	s_waitcnt lgkmcnt(0)
	s_delay_alu instid0(VALU_DEP_1)
	v_cmpx_lt_u64_e64 v[17:18], v[2:3]
	s_cbranch_execz .LBB4_214
; %bb.204:                              ;   in Loop: Header=BB4_32 Depth=1
	s_mov_b32 s21, 0
	s_mov_b32 s24, 0
                                        ; implicit-def: $sgpr22
                                        ; implicit-def: $sgpr23
	s_branch .LBB4_206
.LBB4_205:                              ;   in Loop: Header=BB4_206 Depth=2
	s_or_b32 exec_lo, exec_lo, s27
	s_delay_alu instid0(SALU_CYCLE_1) | instskip(NEXT) | instid1(SALU_CYCLE_1)
	s_and_b32 s25, exec_lo, s26
	s_or_b32 s21, s25, s21
	s_and_not1_b32 s22, s22, exec_lo
	s_and_b32 s25, s23, exec_lo
	s_delay_alu instid0(SALU_CYCLE_1)
	s_or_b32 s22, s22, s25
	s_and_not1_b32 exec_lo, exec_lo, s21
	s_cbranch_execz .LBB4_212
.LBB4_206:                              ;   Parent Loop BB4_32 Depth=1
                                        ; =>  This Inner Loop Header: Depth=2
	s_add_i32 s24, s24, 1
                                        ; implicit-def: $sgpr26
	s_delay_alu instid0(SALU_CYCLE_1) | instskip(SKIP_1) | instid1(SALU_CYCLE_1)
	s_cmpk_lg_i32 s24, 0x2710
	s_cselect_b32 s25, -1, 0
	s_and_b32 vcc_lo, exec_lo, s25
	s_cbranch_vccz .LBB4_210
.LBB4_207:                              ;   in Loop: Header=BB4_206 Depth=2
	s_and_not1_b32 s23, s23, exec_lo
	s_and_b32 s27, s26, exec_lo
	s_mov_b32 s26, -1
	s_or_b32 s23, s23, s27
	s_and_saveexec_b32 s27, s25
	s_cbranch_execz .LBB4_205
; %bb.208:                              ;   in Loop: Header=BB4_206 Depth=2
	s_sleep 1
	s_cbranch_execnz .LBB4_296
; %bb.209:                              ;   in Loop: Header=BB4_206 Depth=2
	ds_load_b64 v[17:18], v0
	s_and_not1_b32 s23, s23, exec_lo
	s_waitcnt lgkmcnt(0)
	v_cmp_ge_u64_e32 vcc_lo, v[17:18], v[2:3]
	s_or_not1_b32 s26, vcc_lo, exec_lo
	s_branch .LBB4_205
.LBB4_210:                              ;   in Loop: Header=BB4_206 Depth=2
	s_cbranch_execnz .LBB4_298
; %bb.211:                              ;   in Loop: Header=BB4_206 Depth=2
	ds_load_b64 v[17:18], v0
	s_and_not1_b32 s25, s25, exec_lo
	s_mov_b32 s24, 0
	s_mov_b32 s26, -1
	s_waitcnt lgkmcnt(0)
	flat_load_b32 v17, v[17:18] glc
	s_waitcnt vmcnt(0) lgkmcnt(0)
	buffer_gl1_inv
	buffer_gl0_inv
	v_cmp_eq_u32_e32 vcc_lo, 0, v17
	s_and_b32 s27, vcc_lo, exec_lo
	s_delay_alu instid0(SALU_CYCLE_1)
	s_or_b32 s25, s25, s27
	s_branch .LBB4_207
.LBB4_212:                              ;   in Loop: Header=BB4_32 Depth=1
	s_or_b32 exec_lo, exec_lo, s21
	s_and_saveexec_b32 s21, s22
	s_delay_alu instid0(SALU_CYCLE_1)
	s_xor_b32 s21, exec_lo, s21
	s_cbranch_execz .LBB4_214
; %bb.213:                              ;   in Loop: Header=BB4_32 Depth=1
	ds_store_b32 v0, v71
	s_cbranch_execnz .LBB4_315
.LBB4_214:                              ;   in Loop: Header=BB4_32 Depth=1
	s_or_b32 exec_lo, exec_lo, s20
	;;#ASMSTART
	s_wakeup
	;;#ASMEND
.LBB4_215:                              ;   in Loop: Header=BB4_32 Depth=1
	s_or_b32 exec_lo, exec_lo, s12
.LBB4_216:                              ;   in Loop: Header=BB4_32 Depth=1
	s_and_not1_saveexec_b32 s11, s11
	s_cbranch_execz .LBB4_218
; %bb.217:                              ;   in Loop: Header=BB4_32 Depth=1
	s_waitcnt vmcnt(0) lgkmcnt(0)
	s_waitcnt_vscnt null, 0x0
	buffer_gl1_inv
	buffer_gl0_inv
	s_barrier
.LBB4_218:                              ;   in Loop: Header=BB4_32 Depth=1
	s_or_b32 exec_lo, exec_lo, s11
.LBB4_219:                              ;   in Loop: Header=BB4_32 Depth=1
	s_delay_alu instid0(SALU_CYCLE_1)
	s_or_b32 exec_lo, exec_lo, s10
	s_and_saveexec_b32 s10, s7
	s_cbranch_execz .LBB4_221
; %bb.220:                              ;   in Loop: Header=BB4_32 Depth=1
	v_add_co_u32 v48, vcc_lo, v48, 1
	v_add_co_ci_u32_e32 v49, vcc_lo, 0, v49, vcc_lo
	s_waitcnt vmcnt(0) lgkmcnt(0)
	s_waitcnt_vscnt null, 0x0
	flat_store_b64 v[36:37], v[48:49]
.LBB4_221:                              ;   in Loop: Header=BB4_32 Depth=1
	s_or_b32 exec_lo, exec_lo, s10
	v_add_co_u32 v82, vcc_lo, v82, v54
	v_add_co_ci_u32_e32 v83, vcc_lo, 0, v83, vcc_lo
	v_add_co_u32 v32, vcc_lo, v32, 1
	v_add_co_ci_u32_e32 v33, vcc_lo, 0, v33, vcc_lo
	s_delay_alu instid0(VALU_DEP_3) | instskip(SKIP_1) | instid1(VALU_DEP_1)
	v_cmp_ge_u64_e32 vcc_lo, v[82:83], v[7:8]
	v_add_co_u32 v9, s10, v9, v134
	v_add_co_ci_u32_e64 v10, s10, 0, v10, s10
	s_or_b32 s18, vcc_lo, s18
	s_delay_alu instid0(SALU_CYCLE_1)
	s_and_not1_b32 exec_lo, exec_lo, s18
	s_cbranch_execnz .LBB4_32
; %bb.222:
	s_or_b32 exec_lo, exec_lo, s18
.LBB4_223:
	s_delay_alu instid0(SALU_CYCLE_1)
	s_or_b32 exec_lo, exec_lo, s16
	s_and_saveexec_b32 s1, s13
	s_cbranch_execz .LBB4_225
; %bb.224:
	s_waitcnt vmcnt(0) lgkmcnt(0)
	flat_store_b64 v[27:28], v[48:49] offset:104
.LBB4_225:
	s_or_b32 exec_lo, exec_lo, s1
	s_and_saveexec_b32 s1, s0
	s_cbranch_execz .LBB4_227
; %bb.226:
	s_waitcnt vmcnt(0) lgkmcnt(0)
	flat_store_b64 v[34:35], v[15:16] offset:104
.LBB4_227:
	s_or_b32 exec_lo, exec_lo, s1
	s_delay_alu instid0(SALU_CYCLE_1)
	s_mov_b32 s0, exec_lo
	v_cmpx_ne_u32_e32 32, v1
	s_cbranch_execz .LBB4_306
; %bb.228:
	s_mov_b32 s1, exec_lo
	v_cmpx_ne_u32_e64 v0, v1
	s_xor_b32 s1, exec_lo, s1
	s_cbranch_execz .LBB4_304
; %bb.229:
	v_and_b32_e32 v0, 31, v31
	s_mov_b32 s2, exec_lo
	s_delay_alu instid0(VALU_DEP_1)
	v_cmpx_eq_u32_e32 0, v0
	s_cbranch_execz .LBB4_303
; %bb.230:
	s_mov_b32 s4, exec_lo
	s_mov_b32 s3, exec_lo
	v_mbcnt_lo_u32_b32 v0, s4, 0
	s_waitcnt vmcnt(0) lgkmcnt(0)
	s_waitcnt_vscnt null, 0x0
	buffer_gl1_inv
	buffer_gl0_inv
	v_cmpx_eq_u32_e32 0, v0
	s_cbranch_execz .LBB4_232
; %bb.231:
	s_bcnt1_i32_b32 s4, s4
	s_delay_alu instid0(SALU_CYCLE_1)
	v_dual_mov_b32 v5, 0 :: v_dual_mov_b32 v4, s4
	ds_add_u64 v0, v[4:5]
	s_cbranch_execnz .LBB4_264
.LBB4_232:
	s_or_b32 exec_lo, exec_lo, s3
	s_cbranch_execnz .LBB4_249
; %bb.233:
	v_ashrrev_i32_e32 v0, 31, v1
	s_mov_b32 s3, exec_lo
	s_delay_alu instid0(VALU_DEP_1) | instskip(NEXT) | instid1(VALU_DEP_1)
	v_lshrrev_b32_e32 v0, 27, v0
	v_add_nc_u32_e32 v0, v1, v0
	ds_load_b64 v[4:5], v0
	v_ashrrev_i32_e32 v0, 5, v0
	s_delay_alu instid0(VALU_DEP_1) | instskip(SKIP_1) | instid1(VALU_DEP_2)
	v_ashrrev_i32_e32 v1, 31, v0
	v_add_co_u32 v0, vcc_lo, v2, v0
	v_add_co_ci_u32_e32 v1, vcc_lo, v3, v1, vcc_lo
	s_waitcnt lgkmcnt(0)
	s_delay_alu instid0(VALU_DEP_1)
	v_cmpx_lt_u64_e64 v[4:5], v[0:1]
	s_cbranch_execz .LBB4_302
; %bb.234:
	s_mov_b32 s4, 0
	s_mov_b32 s7, 0
                                        ; implicit-def: $sgpr5
                                        ; implicit-def: $sgpr6
	s_branch .LBB4_254
.LBB4_235:
	s_trap 2
	s_sendmsg_rtn_b32 s0, sendmsg(MSG_RTN_GET_DOORBELL)
	s_mov_b32 ttmp2, m0
	s_waitcnt lgkmcnt(0)
	s_and_b32 s0, s0, 0x3ff
	s_delay_alu instid0(SALU_CYCLE_1) | instskip(NEXT) | instid1(SALU_CYCLE_1)
	s_bitset1_b32 s0, 10
	s_mov_b32 m0, s0
	s_sendmsg sendmsg(MSG_INTERRUPT)
	s_mov_b32 m0, ttmp2
.LBB4_236:                              ; =>This Inner Loop Header: Depth=1
	s_sethalt 5
	s_branch .LBB4_236
.LBB4_237:
	s_trap 2
	s_sendmsg_rtn_b32 s0, sendmsg(MSG_RTN_GET_DOORBELL)
	s_mov_b32 ttmp2, m0
	s_waitcnt lgkmcnt(0)
	s_and_b32 s0, s0, 0x3ff
	s_delay_alu instid0(SALU_CYCLE_1) | instskip(NEXT) | instid1(SALU_CYCLE_1)
	s_bitset1_b32 s0, 10
	s_mov_b32 m0, s0
	s_sendmsg sendmsg(MSG_INTERRUPT)
	s_mov_b32 m0, ttmp2
.LBB4_238:                              ; =>This Inner Loop Header: Depth=1
	s_sethalt 5
	s_branch .LBB4_238
.LBB4_239:
	s_trap 2
	s_sendmsg_rtn_b32 s0, sendmsg(MSG_RTN_GET_DOORBELL)
	s_mov_b32 ttmp2, m0
	s_waitcnt lgkmcnt(0)
	s_and_b32 s0, s0, 0x3ff
	s_delay_alu instid0(SALU_CYCLE_1) | instskip(NEXT) | instid1(SALU_CYCLE_1)
	s_bitset1_b32 s0, 10
	s_mov_b32 m0, s0
	s_sendmsg sendmsg(MSG_INTERRUPT)
	s_mov_b32 m0, ttmp2
.LBB4_240:                              ; =>This Inner Loop Header: Depth=1
	s_sethalt 5
	s_branch .LBB4_240
.LBB4_241:
	s_trap 2
	s_sendmsg_rtn_b32 s0, sendmsg(MSG_RTN_GET_DOORBELL)
	s_mov_b32 ttmp2, m0
	s_waitcnt lgkmcnt(0)
	s_and_b32 s0, s0, 0x3ff
	s_delay_alu instid0(SALU_CYCLE_1) | instskip(NEXT) | instid1(SALU_CYCLE_1)
	s_bitset1_b32 s0, 10
	s_mov_b32 m0, s0
	s_sendmsg sendmsg(MSG_INTERRUPT)
	s_mov_b32 m0, ttmp2
.LBB4_242:                              ; =>This Inner Loop Header: Depth=1
	s_sethalt 5
	s_branch .LBB4_242
.LBB4_243:
	s_trap 2
	s_sendmsg_rtn_b32 s0, sendmsg(MSG_RTN_GET_DOORBELL)
	s_mov_b32 ttmp2, m0
	s_waitcnt lgkmcnt(0)
	s_and_b32 s0, s0, 0x3ff
	s_delay_alu instid0(SALU_CYCLE_1) | instskip(NEXT) | instid1(SALU_CYCLE_1)
	s_bitset1_b32 s0, 10
	s_mov_b32 m0, s0
	s_sendmsg sendmsg(MSG_INTERRUPT)
	s_mov_b32 m0, ttmp2
.LBB4_244:                              ; =>This Inner Loop Header: Depth=1
	s_sethalt 5
	s_branch .LBB4_244
.LBB4_245:
	s_trap 2
	s_sendmsg_rtn_b32 s0, sendmsg(MSG_RTN_GET_DOORBELL)
	s_mov_b32 ttmp2, m0
	s_waitcnt lgkmcnt(0)
	s_and_b32 s0, s0, 0x3ff
	s_delay_alu instid0(SALU_CYCLE_1) | instskip(NEXT) | instid1(SALU_CYCLE_1)
	s_bitset1_b32 s0, 10
	s_mov_b32 m0, s0
	s_sendmsg sendmsg(MSG_INTERRUPT)
	s_mov_b32 m0, ttmp2
.LBB4_246:                              ; =>This Inner Loop Header: Depth=1
	s_sethalt 5
	s_branch .LBB4_246
.LBB4_247:
	s_trap 2
	s_sendmsg_rtn_b32 s0, sendmsg(MSG_RTN_GET_DOORBELL)
	s_mov_b32 ttmp2, m0
	s_waitcnt lgkmcnt(0)
	s_and_b32 s0, s0, 0x3ff
	s_delay_alu instid0(SALU_CYCLE_1) | instskip(NEXT) | instid1(SALU_CYCLE_1)
	s_bitset1_b32 s0, 10
	s_mov_b32 m0, s0
	s_sendmsg sendmsg(MSG_INTERRUPT)
	s_mov_b32 m0, ttmp2
.LBB4_248:                              ; =>This Inner Loop Header: Depth=1
	s_sethalt 5
	s_branch .LBB4_248
.LBB4_249:
	s_trap 2
	s_sendmsg_rtn_b32 s0, sendmsg(MSG_RTN_GET_DOORBELL)
	s_mov_b32 ttmp2, m0
	s_waitcnt lgkmcnt(0)
	s_and_b32 s0, s0, 0x3ff
	s_delay_alu instid0(SALU_CYCLE_1) | instskip(NEXT) | instid1(SALU_CYCLE_1)
	s_bitset1_b32 s0, 10
	s_mov_b32 m0, s0
	s_sendmsg sendmsg(MSG_INTERRUPT)
	s_mov_b32 m0, ttmp2
.LBB4_250:                              ; =>This Inner Loop Header: Depth=1
	s_sethalt 5
	s_branch .LBB4_250
.LBB4_251:
	s_trap 2
	s_sendmsg_rtn_b32 s0, sendmsg(MSG_RTN_GET_DOORBELL)
	s_mov_b32 ttmp2, m0
	s_waitcnt lgkmcnt(0)
	s_and_b32 s0, s0, 0x3ff
	s_delay_alu instid0(SALU_CYCLE_1) | instskip(NEXT) | instid1(SALU_CYCLE_1)
	s_bitset1_b32 s0, 10
	s_mov_b32 m0, s0
	s_sendmsg sendmsg(MSG_INTERRUPT)
	s_mov_b32 m0, ttmp2
.LBB4_252:                              ; =>This Inner Loop Header: Depth=1
	s_sethalt 5
	s_branch .LBB4_252
.LBB4_253:                              ;   in Loop: Header=BB4_254 Depth=1
	s_or_b32 exec_lo, exec_lo, s10
	s_delay_alu instid0(SALU_CYCLE_1) | instskip(NEXT) | instid1(SALU_CYCLE_1)
	s_and_b32 s8, exec_lo, s9
	s_or_b32 s4, s8, s4
	s_and_not1_b32 s5, s5, exec_lo
	s_and_b32 s8, s6, exec_lo
	s_delay_alu instid0(SALU_CYCLE_1)
	s_or_b32 s5, s5, s8
	s_and_not1_b32 exec_lo, exec_lo, s4
	s_cbranch_execz .LBB4_300
.LBB4_254:                              ; =>This Inner Loop Header: Depth=1
	s_add_i32 s7, s7, 1
                                        ; implicit-def: $sgpr9
	s_delay_alu instid0(SALU_CYCLE_1) | instskip(SKIP_1) | instid1(SALU_CYCLE_1)
	s_cmpk_lg_i32 s7, 0x2710
	s_cselect_b32 s8, -1, 0
	s_and_b32 vcc_lo, exec_lo, s8
	s_cbranch_vccz .LBB4_258
.LBB4_255:                              ;   in Loop: Header=BB4_254 Depth=1
	s_and_not1_b32 s6, s6, exec_lo
	s_and_b32 s10, s9, exec_lo
	s_mov_b32 s9, -1
	s_or_b32 s6, s6, s10
	s_and_saveexec_b32 s10, s8
	s_cbranch_execz .LBB4_253
; %bb.256:                              ;   in Loop: Header=BB4_254 Depth=1
	s_sleep 1
	s_cbranch_execnz .LBB4_278
; %bb.257:                              ;   in Loop: Header=BB4_254 Depth=1
	ds_load_b64 v[2:3], v0
	s_and_not1_b32 s6, s6, exec_lo
	s_waitcnt lgkmcnt(0)
	v_cmp_ge_u64_e32 vcc_lo, v[2:3], v[0:1]
	s_or_not1_b32 s9, vcc_lo, exec_lo
	s_branch .LBB4_253
.LBB4_258:                              ;   in Loop: Header=BB4_254 Depth=1
	s_cbranch_execnz .LBB4_284
; %bb.259:                              ;   in Loop: Header=BB4_254 Depth=1
	ds_load_b64 v[2:3], v0
	s_and_not1_b32 s8, s8, exec_lo
	s_mov_b32 s7, 0
	s_mov_b32 s9, -1
	s_waitcnt lgkmcnt(0)
	flat_load_b32 v2, v[2:3] glc
	s_waitcnt vmcnt(0) lgkmcnt(0)
	buffer_gl1_inv
	buffer_gl0_inv
	v_cmp_eq_u32_e32 vcc_lo, 0, v2
	s_and_b32 s10, vcc_lo, exec_lo
	s_delay_alu instid0(SALU_CYCLE_1)
	s_or_b32 s8, s8, s10
	s_branch .LBB4_255
.LBB4_260:
	s_trap 2
	s_sendmsg_rtn_b32 s0, sendmsg(MSG_RTN_GET_DOORBELL)
	s_mov_b32 ttmp2, m0
	s_waitcnt lgkmcnt(0)
	s_and_b32 s0, s0, 0x3ff
	s_delay_alu instid0(SALU_CYCLE_1) | instskip(NEXT) | instid1(SALU_CYCLE_1)
	s_bitset1_b32 s0, 10
	s_mov_b32 m0, s0
	s_sendmsg sendmsg(MSG_INTERRUPT)
	s_mov_b32 m0, ttmp2
.LBB4_261:                              ; =>This Inner Loop Header: Depth=1
	s_sethalt 5
	s_branch .LBB4_261
.LBB4_262:
	s_trap 2
	s_sendmsg_rtn_b32 s0, sendmsg(MSG_RTN_GET_DOORBELL)
	s_mov_b32 ttmp2, m0
	s_waitcnt lgkmcnt(0)
	s_and_b32 s0, s0, 0x3ff
	s_delay_alu instid0(SALU_CYCLE_1) | instskip(NEXT) | instid1(SALU_CYCLE_1)
	s_bitset1_b32 s0, 10
	s_mov_b32 m0, s0
	s_sendmsg sendmsg(MSG_INTERRUPT)
	s_mov_b32 m0, ttmp2
.LBB4_263:                              ; =>This Inner Loop Header: Depth=1
	s_sethalt 5
	s_branch .LBB4_263
.LBB4_264:
	s_trap 2
	s_sendmsg_rtn_b32 s0, sendmsg(MSG_RTN_GET_DOORBELL)
	s_mov_b32 ttmp2, m0
	s_waitcnt lgkmcnt(0)
	s_and_b32 s0, s0, 0x3ff
	s_delay_alu instid0(SALU_CYCLE_1) | instskip(NEXT) | instid1(SALU_CYCLE_1)
	s_bitset1_b32 s0, 10
	s_mov_b32 m0, s0
	s_sendmsg sendmsg(MSG_INTERRUPT)
	s_mov_b32 m0, ttmp2
.LBB4_265:                              ; =>This Inner Loop Header: Depth=1
	s_sethalt 5
	s_branch .LBB4_265
.LBB4_266:
	s_trap 2
	s_sendmsg_rtn_b32 s0, sendmsg(MSG_RTN_GET_DOORBELL)
	s_mov_b32 ttmp2, m0
	s_waitcnt lgkmcnt(0)
	s_and_b32 s0, s0, 0x3ff
	s_delay_alu instid0(SALU_CYCLE_1) | instskip(NEXT) | instid1(SALU_CYCLE_1)
	s_bitset1_b32 s0, 10
	s_mov_b32 m0, s0
	s_sendmsg sendmsg(MSG_INTERRUPT)
	s_mov_b32 m0, ttmp2
.LBB4_267:                              ; =>This Inner Loop Header: Depth=1
	s_sethalt 5
	s_branch .LBB4_267
.LBB4_268:
	s_trap 2
	s_sendmsg_rtn_b32 s0, sendmsg(MSG_RTN_GET_DOORBELL)
	s_mov_b32 ttmp2, m0
	s_waitcnt lgkmcnt(0)
	s_and_b32 s0, s0, 0x3ff
	s_delay_alu instid0(SALU_CYCLE_1) | instskip(NEXT) | instid1(SALU_CYCLE_1)
	s_bitset1_b32 s0, 10
	s_mov_b32 m0, s0
	s_sendmsg sendmsg(MSG_INTERRUPT)
	s_mov_b32 m0, ttmp2
.LBB4_269:                              ; =>This Inner Loop Header: Depth=1
	s_sethalt 5
	s_branch .LBB4_269
.LBB4_270:
	s_trap 2
	s_sendmsg_rtn_b32 s0, sendmsg(MSG_RTN_GET_DOORBELL)
	s_mov_b32 ttmp2, m0
	s_waitcnt lgkmcnt(0)
	s_and_b32 s0, s0, 0x3ff
	s_delay_alu instid0(SALU_CYCLE_1) | instskip(NEXT) | instid1(SALU_CYCLE_1)
	s_bitset1_b32 s0, 10
	s_mov_b32 m0, s0
	s_sendmsg sendmsg(MSG_INTERRUPT)
	s_mov_b32 m0, ttmp2
.LBB4_271:                              ; =>This Inner Loop Header: Depth=1
	s_sethalt 5
	s_branch .LBB4_271
.LBB4_272:
	s_trap 2
	s_sendmsg_rtn_b32 s0, sendmsg(MSG_RTN_GET_DOORBELL)
	s_mov_b32 ttmp2, m0
	s_waitcnt lgkmcnt(0)
	s_and_b32 s0, s0, 0x3ff
	s_delay_alu instid0(SALU_CYCLE_1) | instskip(NEXT) | instid1(SALU_CYCLE_1)
	s_bitset1_b32 s0, 10
	s_mov_b32 m0, s0
	s_sendmsg sendmsg(MSG_INTERRUPT)
	s_mov_b32 m0, ttmp2
.LBB4_273:                              ; =>This Inner Loop Header: Depth=1
	s_sethalt 5
	s_branch .LBB4_273
.LBB4_274:
	s_trap 2
	s_sendmsg_rtn_b32 s0, sendmsg(MSG_RTN_GET_DOORBELL)
	s_mov_b32 ttmp2, m0
	s_waitcnt lgkmcnt(0)
	s_and_b32 s0, s0, 0x3ff
	s_delay_alu instid0(SALU_CYCLE_1) | instskip(NEXT) | instid1(SALU_CYCLE_1)
	s_bitset1_b32 s0, 10
	s_mov_b32 m0, s0
	s_sendmsg sendmsg(MSG_INTERRUPT)
	s_mov_b32 m0, ttmp2
.LBB4_275:                              ; =>This Inner Loop Header: Depth=1
	s_sethalt 5
	s_branch .LBB4_275
.LBB4_276:
	s_trap 2
	s_sendmsg_rtn_b32 s0, sendmsg(MSG_RTN_GET_DOORBELL)
	s_mov_b32 ttmp2, m0
	s_waitcnt lgkmcnt(0)
	s_and_b32 s0, s0, 0x3ff
	s_delay_alu instid0(SALU_CYCLE_1) | instskip(NEXT) | instid1(SALU_CYCLE_1)
	s_bitset1_b32 s0, 10
	s_mov_b32 m0, s0
	s_sendmsg sendmsg(MSG_INTERRUPT)
	s_mov_b32 m0, ttmp2
.LBB4_277:                              ; =>This Inner Loop Header: Depth=1
	s_sethalt 5
	s_branch .LBB4_277
.LBB4_278:
	s_trap 2
	s_sendmsg_rtn_b32 s0, sendmsg(MSG_RTN_GET_DOORBELL)
	s_mov_b32 ttmp2, m0
	s_waitcnt lgkmcnt(0)
	s_and_b32 s0, s0, 0x3ff
	s_delay_alu instid0(SALU_CYCLE_1) | instskip(NEXT) | instid1(SALU_CYCLE_1)
	s_bitset1_b32 s0, 10
	s_mov_b32 m0, s0
	s_sendmsg sendmsg(MSG_INTERRUPT)
	s_mov_b32 m0, ttmp2
.LBB4_279:                              ; =>This Inner Loop Header: Depth=1
	s_sethalt 5
	s_branch .LBB4_279
.LBB4_280:
	s_trap 2
	s_sendmsg_rtn_b32 s0, sendmsg(MSG_RTN_GET_DOORBELL)
	s_mov_b32 ttmp2, m0
	s_waitcnt lgkmcnt(0)
	s_and_b32 s0, s0, 0x3ff
	s_delay_alu instid0(SALU_CYCLE_1) | instskip(NEXT) | instid1(SALU_CYCLE_1)
	s_bitset1_b32 s0, 10
	s_mov_b32 m0, s0
	s_sendmsg sendmsg(MSG_INTERRUPT)
	s_mov_b32 m0, ttmp2
.LBB4_281:                              ; =>This Inner Loop Header: Depth=1
	s_sethalt 5
	s_branch .LBB4_281
.LBB4_282:
	s_trap 2
	s_sendmsg_rtn_b32 s0, sendmsg(MSG_RTN_GET_DOORBELL)
	s_mov_b32 ttmp2, m0
	s_waitcnt lgkmcnt(0)
	s_and_b32 s0, s0, 0x3ff
	s_delay_alu instid0(SALU_CYCLE_1) | instskip(NEXT) | instid1(SALU_CYCLE_1)
	s_bitset1_b32 s0, 10
	s_mov_b32 m0, s0
	s_sendmsg sendmsg(MSG_INTERRUPT)
	s_mov_b32 m0, ttmp2
.LBB4_283:                              ; =>This Inner Loop Header: Depth=1
	s_sethalt 5
	s_branch .LBB4_283
.LBB4_284:
	s_trap 2
	s_sendmsg_rtn_b32 s0, sendmsg(MSG_RTN_GET_DOORBELL)
	s_mov_b32 ttmp2, m0
	s_waitcnt lgkmcnt(0)
	s_and_b32 s0, s0, 0x3ff
	s_delay_alu instid0(SALU_CYCLE_1) | instskip(NEXT) | instid1(SALU_CYCLE_1)
	s_bitset1_b32 s0, 10
	s_mov_b32 m0, s0
	s_sendmsg sendmsg(MSG_INTERRUPT)
	s_mov_b32 m0, ttmp2
.LBB4_285:                              ; =>This Inner Loop Header: Depth=1
	s_sethalt 5
	s_branch .LBB4_285
.LBB4_286:
	s_trap 2
	s_sendmsg_rtn_b32 s0, sendmsg(MSG_RTN_GET_DOORBELL)
	s_mov_b32 ttmp2, m0
	s_waitcnt lgkmcnt(0)
	s_and_b32 s0, s0, 0x3ff
	s_delay_alu instid0(SALU_CYCLE_1) | instskip(NEXT) | instid1(SALU_CYCLE_1)
	s_bitset1_b32 s0, 10
	s_mov_b32 m0, s0
	s_sendmsg sendmsg(MSG_INTERRUPT)
	s_mov_b32 m0, ttmp2
.LBB4_287:                              ; =>This Inner Loop Header: Depth=1
	s_sethalt 5
	s_branch .LBB4_287
.LBB4_288:
	s_trap 2
	s_sendmsg_rtn_b32 s0, sendmsg(MSG_RTN_GET_DOORBELL)
	s_mov_b32 ttmp2, m0
	s_waitcnt lgkmcnt(0)
	s_and_b32 s0, s0, 0x3ff
	s_delay_alu instid0(SALU_CYCLE_1) | instskip(NEXT) | instid1(SALU_CYCLE_1)
	s_bitset1_b32 s0, 10
	s_mov_b32 m0, s0
	s_sendmsg sendmsg(MSG_INTERRUPT)
	s_mov_b32 m0, ttmp2
.LBB4_289:                              ; =>This Inner Loop Header: Depth=1
	s_sethalt 5
	s_branch .LBB4_289
.LBB4_290:
	s_trap 2
	s_sendmsg_rtn_b32 s0, sendmsg(MSG_RTN_GET_DOORBELL)
	s_mov_b32 ttmp2, m0
	s_waitcnt lgkmcnt(0)
	s_and_b32 s0, s0, 0x3ff
	s_delay_alu instid0(SALU_CYCLE_1) | instskip(NEXT) | instid1(SALU_CYCLE_1)
	s_bitset1_b32 s0, 10
	s_mov_b32 m0, s0
	s_sendmsg sendmsg(MSG_INTERRUPT)
	s_mov_b32 m0, ttmp2
.LBB4_291:                              ; =>This Inner Loop Header: Depth=1
	s_sethalt 5
	s_branch .LBB4_291
.LBB4_292:
	s_trap 2
	s_sendmsg_rtn_b32 s0, sendmsg(MSG_RTN_GET_DOORBELL)
	s_mov_b32 ttmp2, m0
	s_waitcnt lgkmcnt(0)
	s_and_b32 s0, s0, 0x3ff
	s_delay_alu instid0(SALU_CYCLE_1) | instskip(NEXT) | instid1(SALU_CYCLE_1)
	s_bitset1_b32 s0, 10
	s_mov_b32 m0, s0
	s_sendmsg sendmsg(MSG_INTERRUPT)
	s_mov_b32 m0, ttmp2
.LBB4_293:                              ; =>This Inner Loop Header: Depth=1
	s_sethalt 5
	s_branch .LBB4_293
.LBB4_294:
	s_trap 2
	s_sendmsg_rtn_b32 s0, sendmsg(MSG_RTN_GET_DOORBELL)
	s_mov_b32 ttmp2, m0
	s_waitcnt lgkmcnt(0)
	s_and_b32 s0, s0, 0x3ff
	s_delay_alu instid0(SALU_CYCLE_1) | instskip(NEXT) | instid1(SALU_CYCLE_1)
	s_bitset1_b32 s0, 10
	s_mov_b32 m0, s0
	s_sendmsg sendmsg(MSG_INTERRUPT)
	s_mov_b32 m0, ttmp2
.LBB4_295:                              ; =>This Inner Loop Header: Depth=1
	s_sethalt 5
	s_branch .LBB4_295
.LBB4_296:
	s_trap 2
	s_sendmsg_rtn_b32 s0, sendmsg(MSG_RTN_GET_DOORBELL)
	s_mov_b32 ttmp2, m0
	s_waitcnt lgkmcnt(0)
	s_and_b32 s0, s0, 0x3ff
	s_delay_alu instid0(SALU_CYCLE_1) | instskip(NEXT) | instid1(SALU_CYCLE_1)
	s_bitset1_b32 s0, 10
	s_mov_b32 m0, s0
	s_sendmsg sendmsg(MSG_INTERRUPT)
	s_mov_b32 m0, ttmp2
.LBB4_297:                              ; =>This Inner Loop Header: Depth=1
	s_sethalt 5
	s_branch .LBB4_297
.LBB4_298:
	s_trap 2
	s_sendmsg_rtn_b32 s0, sendmsg(MSG_RTN_GET_DOORBELL)
	s_mov_b32 ttmp2, m0
	s_waitcnt lgkmcnt(0)
	s_and_b32 s0, s0, 0x3ff
	s_delay_alu instid0(SALU_CYCLE_1) | instskip(NEXT) | instid1(SALU_CYCLE_1)
	s_bitset1_b32 s0, 10
	s_mov_b32 m0, s0
	s_sendmsg sendmsg(MSG_INTERRUPT)
	s_mov_b32 m0, ttmp2
.LBB4_299:                              ; =>This Inner Loop Header: Depth=1
	s_sethalt 5
	s_branch .LBB4_299
.LBB4_300:
	s_or_b32 exec_lo, exec_lo, s4
	s_and_saveexec_b32 s4, s5
	s_delay_alu instid0(SALU_CYCLE_1)
	s_xor_b32 s4, exec_lo, s4
	s_cbranch_execz .LBB4_302
; %bb.301:
	v_mov_b32_e32 v0, 1
	ds_store_b32 v0, v0
	s_cbranch_execnz .LBB4_309
.LBB4_302:
	s_or_b32 exec_lo, exec_lo, s3
	;;#ASMSTART
	s_wakeup
	;;#ASMEND
.LBB4_303:
	s_or_b32 exec_lo, exec_lo, s2
.LBB4_304:
	s_and_not1_saveexec_b32 s1, s1
	s_cbranch_execz .LBB4_306
; %bb.305:
	s_waitcnt vmcnt(0) lgkmcnt(0)
	s_waitcnt_vscnt null, 0x0
	buffer_gl1_inv
	buffer_gl0_inv
	s_barrier
.LBB4_306:
	s_or_b32 exec_lo, exec_lo, s0
	s_waitcnt vmcnt(0) lgkmcnt(0)
	s_setpc_b64 s[30:31]
.LBB4_307:
	s_trap 2
	s_sendmsg_rtn_b32 s0, sendmsg(MSG_RTN_GET_DOORBELL)
	s_mov_b32 ttmp2, m0
	s_waitcnt lgkmcnt(0)
	s_and_b32 s0, s0, 0x3ff
	s_delay_alu instid0(SALU_CYCLE_1) | instskip(NEXT) | instid1(SALU_CYCLE_1)
	s_bitset1_b32 s0, 10
	s_mov_b32 m0, s0
	s_sendmsg sendmsg(MSG_INTERRUPT)
	s_mov_b32 m0, ttmp2
.LBB4_308:                              ; =>This Inner Loop Header: Depth=1
	s_sethalt 5
	s_branch .LBB4_308
.LBB4_309:
	s_trap 2
	s_sendmsg_rtn_b32 s0, sendmsg(MSG_RTN_GET_DOORBELL)
	s_mov_b32 ttmp2, m0
	s_waitcnt lgkmcnt(0)
	s_and_b32 s0, s0, 0x3ff
	s_delay_alu instid0(SALU_CYCLE_1) | instskip(NEXT) | instid1(SALU_CYCLE_1)
	s_bitset1_b32 s0, 10
	s_mov_b32 m0, s0
	s_sendmsg sendmsg(MSG_INTERRUPT)
	s_mov_b32 m0, ttmp2
.LBB4_310:                              ; =>This Inner Loop Header: Depth=1
	s_sethalt 5
	s_branch .LBB4_310
.LBB4_311:
	s_trap 2
	s_sendmsg_rtn_b32 s0, sendmsg(MSG_RTN_GET_DOORBELL)
	s_mov_b32 ttmp2, m0
	s_waitcnt lgkmcnt(0)
	s_and_b32 s0, s0, 0x3ff
	s_delay_alu instid0(SALU_CYCLE_1) | instskip(NEXT) | instid1(SALU_CYCLE_1)
	s_bitset1_b32 s0, 10
	s_mov_b32 m0, s0
	s_sendmsg sendmsg(MSG_INTERRUPT)
	s_mov_b32 m0, ttmp2
.LBB4_312:                              ; =>This Inner Loop Header: Depth=1
	s_sethalt 5
	s_branch .LBB4_312
.LBB4_313:
	s_trap 2
	s_sendmsg_rtn_b32 s0, sendmsg(MSG_RTN_GET_DOORBELL)
	s_mov_b32 ttmp2, m0
	s_waitcnt lgkmcnt(0)
	s_and_b32 s0, s0, 0x3ff
	s_delay_alu instid0(SALU_CYCLE_1) | instskip(NEXT) | instid1(SALU_CYCLE_1)
	s_bitset1_b32 s0, 10
	s_mov_b32 m0, s0
	s_sendmsg sendmsg(MSG_INTERRUPT)
	s_mov_b32 m0, ttmp2
.LBB4_314:                              ; =>This Inner Loop Header: Depth=1
	s_sethalt 5
	s_branch .LBB4_314
.LBB4_315:
	s_trap 2
	s_sendmsg_rtn_b32 s0, sendmsg(MSG_RTN_GET_DOORBELL)
	s_mov_b32 ttmp2, m0
	s_waitcnt lgkmcnt(0)
	s_and_b32 s0, s0, 0x3ff
	s_delay_alu instid0(SALU_CYCLE_1) | instskip(NEXT) | instid1(SALU_CYCLE_1)
	s_bitset1_b32 s0, 10
	s_mov_b32 m0, s0
	s_sendmsg sendmsg(MSG_INTERRUPT)
	s_mov_b32 m0, ttmp2
.LBB4_316:                              ; =>This Inner Loop Header: Depth=1
	s_sethalt 5
	s_branch .LBB4_316
.Lfunc_end4:
	.size	_ZN12_GLOBAL__N_17runRingIf10FuncMinMaxIfE7ProtoLLLi0ELi4ELi0EEEviiP15ncclDevWorkColl, .Lfunc_end4-_ZN12_GLOBAL__N_17runRingIf10FuncMinMaxIfE7ProtoLLLi0ELi4ELi0EEEviiP15ncclDevWorkColl
                                        ; -- End function
	.section	.AMDGPU.csdata,"",@progbits
; Function info:
; codeLenInByte = 9608
; NumSgprs: 34
; NumVgprs: 166
; ScratchSize: 0
; MemoryBound: 0
	.text
	.p2align	2                               ; -- Begin function _Z50ncclDevFunc_ReduceScatter_RING_LL_MinMax_f32_0_0_4v
	.type	_Z50ncclDevFunc_ReduceScatter_RING_LL_MinMax_f32_0_0_4v,@function
_Z50ncclDevFunc_ReduceScatter_RING_LL_MinMax_f32_0_0_4v: ; @_Z50ncclDevFunc_ReduceScatter_RING_LL_MinMax_f32_0_0_4v
; %bb.0:
	s_waitcnt vmcnt(0) expcnt(0) lgkmcnt(0)
	s_mov_b32 s0, s33
	s_mov_b32 s33, s32
	s_or_saveexec_b32 s1, -1
	scratch_store_b32 off, v40, s33         ; 4-byte Folded Spill
	s_mov_b32 exec_lo, s1
	v_writelane_b32 v40, s0, 8
	s_add_i32 s32, s32, 16
	v_writelane_b32 v40, s34, 0
	v_writelane_b32 v40, s35, 1
	;; [unrolled: 1-line block ×8, first 2 shown]
	s_cbranch_execnz .LBB5_7
; %bb.1:
	ds_load_b32 v2, v0
	v_and_b32_e32 v166, 0x3ff, v31
	s_mov_b32 s0, exec_lo
	s_waitcnt lgkmcnt(0)
	s_delay_alu instid0(VALU_DEP_1)
	v_cmpx_lt_i32_e64 v166, v2
	s_cbranch_execz .LBB5_9
; %bb.2:
	s_load_b32 s1, s[8:9], 0x0
	v_mov_b32_e32 v1, 0
	s_waitcnt lgkmcnt(0)
	s_cmp_lt_u32 s12, s1
	s_cselect_b32 s1, 12, 18
	s_delay_alu instid0(SALU_CYCLE_1)
	s_add_u32 s2, s8, s1
	s_addc_u32 s3, s9, 0
	s_mov_b32 s1, 0
	global_load_u16 v3, v1, s[2:3]
	s_cbranch_execnz .LBB5_24
; %bb.3:
	ds_load_b32 v0, v0
	v_mov_b32_e32 v5, v166
                                        ; implicit-def: $vgpr6
	s_waitcnt vmcnt(0) lgkmcnt(0)
	v_mul_lo_u32 v4, v0, v3
	s_branch .LBB5_5
	.p2align	6
.LBB5_4:                                ;   in Loop: Header=BB5_5 Depth=1
	s_or_b32 exec_lo, exec_lo, s2
	v_add_nc_u32_e32 v5, v5, v3
	v_add_nc_u32_e32 v6, v6, v4
	s_delay_alu instid0(VALU_DEP_2) | instskip(SKIP_1) | instid1(SALU_CYCLE_1)
	v_cmp_ge_i32_e32 vcc_lo, v5, v2
	s_or_b32 s1, vcc_lo, s1
	s_and_not1_b32 exec_lo, exec_lo, s1
	s_cbranch_execz .LBB5_9
.LBB5_5:                                ; =>This Inner Loop Header: Depth=1
	ds_load_b32 v0, v6
	s_mov_b32 s2, exec_lo
	s_waitcnt lgkmcnt(0)
	v_and_b32_e32 v0, 0x1000000, v0
	s_delay_alu instid0(VALU_DEP_1)
	v_cmpx_ne_u32_e32 0, v0
	s_cbranch_execz .LBB5_4
; %bb.6:                                ;   in Loop: Header=BB5_5 Depth=1
	ds_load_b64 v[7:8], v6 offset:104
	s_waitcnt lgkmcnt(0)
	flat_load_b32 v0, v[7:8]
	s_waitcnt vmcnt(0) lgkmcnt(0)
	ds_store_b64 v6, v[0:1] offset:104
	s_branch .LBB5_4
.LBB5_7:
	s_trap 2
	s_sendmsg_rtn_b32 s0, sendmsg(MSG_RTN_GET_DOORBELL)
	s_mov_b32 ttmp2, m0
	s_waitcnt lgkmcnt(0)
	s_and_b32 s0, s0, 0x3ff
	s_delay_alu instid0(SALU_CYCLE_1) | instskip(NEXT) | instid1(SALU_CYCLE_1)
	s_bitset1_b32 s0, 10
	s_mov_b32 m0, s0
	s_sendmsg sendmsg(MSG_INTERRUPT)
	s_mov_b32 m0, ttmp2
.LBB5_8:                                ; =>This Inner Loop Header: Depth=1
	s_sethalt 5
	s_branch .LBB5_8
.LBB5_9:
	s_or_b32 exec_lo, exec_lo, s0
	s_waitcnt lgkmcnt(0)
	s_waitcnt_vscnt null, 0x0
	s_barrier
	buffer_gl0_inv
	s_cbranch_execnz .LBB5_22
; %bb.10:
	ds_load_b32 v0, v0
	s_waitcnt lgkmcnt(0)
	v_cmp_gt_i32_e32 vcc_lo, 1, v0
	s_cbranch_vccnz .LBB5_21
; %bb.11:
	s_mov_b32 s38, 0
	s_mov_b64 s[36:37], src_shared_base
.LBB5_12:                               ; =>This Inner Loop Header: Depth=1
	s_cbranch_execnz .LBB5_26
; %bb.13:                               ;   in Loop: Header=BB5_12 Depth=1
	ds_load_b32 v0, v0
	s_cmp_eq_u32 s38, 0
	s_cbranch_scc1 .LBB5_17
; %bb.14:                               ;   in Loop: Header=BB5_12 Depth=1
	s_cbranch_execnz .LBB5_30
; %bb.15:                               ;   in Loop: Header=BB5_12 Depth=1
	s_waitcnt lgkmcnt(0)
	ds_load_b32 v1, v0
	s_waitcnt lgkmcnt(0)
	v_xor_b32_e32 v1, v1, v0
	s_delay_alu instid0(VALU_DEP_1) | instskip(NEXT) | instid1(VALU_DEP_1)
	v_and_b32_e32 v1, 0xff0000, v1
	v_cmp_eq_u32_e32 vcc_lo, 0, v1
	s_cbranch_vccnz .LBB5_17
; %bb.16:                               ;   in Loop: Header=BB5_12 Depth=1
	s_waitcnt_vscnt null, 0x0
	s_barrier
	buffer_gl0_inv
	ds_load_b32 v0, v0
.LBB5_17:                               ;   in Loop: Header=BB5_12 Depth=1
	s_waitcnt lgkmcnt(0)
	v_lshrrev_b32_e32 v0, 11, v0
	s_mov_b32 s39, exec_lo
	s_delay_alu instid0(VALU_DEP_1) | instskip(NEXT) | instid1(VALU_DEP_1)
	v_and_b32_e32 v1, 0x1fe0, v0
	v_cmpx_lt_u32_e64 v166, v1
	s_cbranch_execz .LBB5_19
; %bb.18:                               ;   in Loop: Header=BB5_12 Depth=1
	v_dual_mov_b32 v0, v166 :: v_dual_mov_b32 v3, s37
	s_getpc_b64 s[0:1]
	s_add_u32 s0, s0, _ZN12_GLOBAL__N_17runRingIf10FuncMinMaxIfE7ProtoLLLi0ELi4ELi0EEEviiP15ncclDevWorkColl@rel32@lo+4
	s_addc_u32 s1, s1, _ZN12_GLOBAL__N_17runRingIf10FuncMinMaxIfE7ProtoLLLi0ELi4ELi0EEEviiP15ncclDevWorkColl@rel32@hi+12
	s_mov_b64 s[34:35], s[8:9]
	s_mov_b32 s36, s12
	s_swappc_b64 s[30:31], s[0:1]
	s_mov_b32 s12, s36
	s_mov_b64 s[8:9], s[34:35]
.LBB5_19:                               ;   in Loop: Header=BB5_12 Depth=1
	s_or_b32 exec_lo, exec_lo, s39
	s_cbranch_execnz .LBB5_28
; %bb.20:                               ;   in Loop: Header=BB5_12 Depth=1
	ds_load_b32 v0, v0
	s_add_i32 s38, s38, 1
	s_waitcnt lgkmcnt(0)
	v_cmp_lt_i32_e32 vcc_lo, s38, v0
	s_cbranch_vccnz .LBB5_12
.LBB5_21:
	v_readlane_b32 s30, v40, 6
	v_readlane_b32 s31, v40, 7
	;; [unrolled: 1-line block ×9, first 2 shown]
	s_or_saveexec_b32 s1, -1
	scratch_load_b32 v40, off, s33          ; 4-byte Folded Reload
	s_mov_b32 exec_lo, s1
	s_add_i32 s32, s32, -16
	s_mov_b32 s33, s0
	s_waitcnt vmcnt(0)
	s_setpc_b64 s[30:31]
.LBB5_22:
	s_trap 2
	s_sendmsg_rtn_b32 s0, sendmsg(MSG_RTN_GET_DOORBELL)
	s_mov_b32 ttmp2, m0
	s_waitcnt lgkmcnt(0)
	s_and_b32 s0, s0, 0x3ff
	s_delay_alu instid0(SALU_CYCLE_1) | instskip(NEXT) | instid1(SALU_CYCLE_1)
	s_bitset1_b32 s0, 10
	s_mov_b32 m0, s0
	s_sendmsg sendmsg(MSG_INTERRUPT)
	s_mov_b32 m0, ttmp2
.LBB5_23:                               ; =>This Inner Loop Header: Depth=1
	s_sethalt 5
	s_branch .LBB5_23
.LBB5_24:
	s_trap 2
	s_sendmsg_rtn_b32 s0, sendmsg(MSG_RTN_GET_DOORBELL)
	s_mov_b32 ttmp2, m0
	s_waitcnt lgkmcnt(0)
	s_and_b32 s0, s0, 0x3ff
	s_delay_alu instid0(SALU_CYCLE_1) | instskip(NEXT) | instid1(SALU_CYCLE_1)
	s_bitset1_b32 s0, 10
	s_mov_b32 m0, s0
	s_sendmsg sendmsg(MSG_INTERRUPT)
	s_mov_b32 m0, ttmp2
.LBB5_25:                               ; =>This Inner Loop Header: Depth=1
	s_sethalt 5
	s_branch .LBB5_25
.LBB5_26:
	s_trap 2
	s_sendmsg_rtn_b32 s0, sendmsg(MSG_RTN_GET_DOORBELL)
	s_mov_b32 ttmp2, m0
	s_waitcnt lgkmcnt(0)
	s_and_b32 s0, s0, 0x3ff
	s_delay_alu instid0(SALU_CYCLE_1) | instskip(NEXT) | instid1(SALU_CYCLE_1)
	s_bitset1_b32 s0, 10
	s_mov_b32 m0, s0
	s_sendmsg sendmsg(MSG_INTERRUPT)
	s_mov_b32 m0, ttmp2
.LBB5_27:                               ; =>This Inner Loop Header: Depth=1
	s_sethalt 5
	s_branch .LBB5_27
.LBB5_28:
	s_trap 2
	s_sendmsg_rtn_b32 s0, sendmsg(MSG_RTN_GET_DOORBELL)
	s_mov_b32 ttmp2, m0
	s_waitcnt lgkmcnt(0)
	s_and_b32 s0, s0, 0x3ff
	s_delay_alu instid0(SALU_CYCLE_1) | instskip(NEXT) | instid1(SALU_CYCLE_1)
	s_bitset1_b32 s0, 10
	s_mov_b32 m0, s0
	s_sendmsg sendmsg(MSG_INTERRUPT)
	s_mov_b32 m0, ttmp2
.LBB5_29:                               ; =>This Inner Loop Header: Depth=1
	s_sethalt 5
	s_branch .LBB5_29
.LBB5_30:
	s_trap 2
	s_sendmsg_rtn_b32 s0, sendmsg(MSG_RTN_GET_DOORBELL)
	s_mov_b32 ttmp2, m0
	s_waitcnt lgkmcnt(0)
	s_and_b32 s0, s0, 0x3ff
	s_delay_alu instid0(SALU_CYCLE_1) | instskip(NEXT) | instid1(SALU_CYCLE_1)
	s_bitset1_b32 s0, 10
	s_mov_b32 m0, s0
	s_sendmsg sendmsg(MSG_INTERRUPT)
	s_mov_b32 m0, ttmp2
.LBB5_31:                               ; =>This Inner Loop Header: Depth=1
	s_sethalt 5
	s_branch .LBB5_31
.Lfunc_end5:
	.size	_Z50ncclDevFunc_ReduceScatter_RING_LL_MinMax_f32_0_0_4v, .Lfunc_end5-_Z50ncclDevFunc_ReduceScatter_RING_LL_MinMax_f32_0_0_4v
                                        ; -- End function
	.section	.AMDGPU.csdata,"",@progbits
; Function info:
; codeLenInByte = 1008
; NumSgprs: 42
; NumVgprs: 167
; ScratchSize: 16
; MemoryBound: 0
	.text
	.p2alignl 7, 3214868480
	.fill 96, 4, 3214868480
	.type	__hip_cuid_59b41e9dcaded77f,@object ; @__hip_cuid_59b41e9dcaded77f
	.section	.bss,"aw",@nobits
	.globl	__hip_cuid_59b41e9dcaded77f
__hip_cuid_59b41e9dcaded77f:
	.byte	0                               ; 0x0
	.size	__hip_cuid_59b41e9dcaded77f, 1

	.ident	"AMD clang version 19.0.0git (https://github.com/RadeonOpenCompute/llvm-project roc-6.4.0 25133 c7fe45cf4b819c5991fe208aaa96edf142730f1d)"
	.section	".note.GNU-stack","",@progbits
	.addrsig
	.addrsig_sym _Z50ncclDevFunc_ReduceScatter_RING_LL_MinMax_f32_0_0_1v
	.addrsig_sym _Z50ncclDevFunc_ReduceScatter_RING_LL_MinMax_f32_0_0_2v
	.addrsig_sym _Z50ncclDevFunc_ReduceScatter_RING_LL_MinMax_f32_0_0_4v
	.addrsig_sym ncclShmem
	.addrsig_sym __hip_cuid_59b41e9dcaded77f
	.amdgpu_metadata
---
amdhsa.kernels:  []
amdhsa.target:   amdgcn-amd-amdhsa--gfx1100
amdhsa.version:
  - 1
  - 2
...

	.end_amdgpu_metadata
